;; amdgpu-corpus repo=ROCm/MIOpen kind=compiled arch=gfx1250 opt=O3
	.amdgcn_target "amdgcn-amd-amdhsa--gfx1250"
	.amdhsa_code_object_version 6
	.text
	.protected	naive_conv_nonpacked_fwd_nchw_float_half_float ; -- Begin function naive_conv_nonpacked_fwd_nchw_float_half_float
	.globl	naive_conv_nonpacked_fwd_nchw_float_half_float
	.p2align	8
	.type	naive_conv_nonpacked_fwd_nchw_float_half_float,@function
naive_conv_nonpacked_fwd_nchw_float_half_float: ; @naive_conv_nonpacked_fwd_nchw_float_half_float
; %bb.0:
	s_load_b512 s[4:19], s[0:1], 0x18
	s_bfe_u32 s2, ttmp6, 0x4000c
	s_and_b32 s3, ttmp6, 15
	s_add_co_i32 s2, s2, 1
	s_getreg_b32 s20, hwreg(HW_REG_IB_STS2, 6, 4)
	s_mul_i32 s2, ttmp9, s2
	s_delay_alu instid0(SALU_CYCLE_1)
	s_add_co_i32 s3, s3, s2
	s_cmp_eq_u32 s20, 0
	s_cselect_b32 s33, ttmp9, s3
	s_wait_kmcnt 0x0
	s_abs_i32 s2, s7
	s_mul_i32 s62, s10, s9
	s_cvt_f32_u32 s3, s2
	s_sub_co_i32 s20, 0, s2
	s_delay_alu instid0(SALU_CYCLE_2) | instskip(SKIP_1) | instid1(TRANS32_DEP_1)
	v_rcp_iflag_f32_e32 v1, s3
	v_nop
	v_readfirstlane_b32 s3, v1
	s_mul_f32 s3, s3, 0x4f7ffffe
	s_delay_alu instid0(SALU_CYCLE_3) | instskip(NEXT) | instid1(SALU_CYCLE_3)
	s_cvt_u32_f32 s3, s3
	s_mul_i32 s20, s20, s3
	s_delay_alu instid0(SALU_CYCLE_1) | instskip(SKIP_2) | instid1(SALU_CYCLE_1)
	s_mul_hi_u32 s21, s3, s20
	s_abs_i32 s20, s33
	s_add_co_i32 s3, s3, s21
	s_mul_hi_u32 s3, s20, s3
	s_delay_alu instid0(SALU_CYCLE_1) | instskip(SKIP_2) | instid1(SALU_CYCLE_1)
	s_mul_i32 s21, s3, s2
	s_add_co_i32 s22, s3, 1
	s_sub_co_i32 s21, s20, s21
	s_sub_co_i32 s23, s21, s2
	s_cmp_ge_u32 s21, s2
	s_cselect_b32 s3, s22, s3
	s_cselect_b32 s21, s23, s21
	s_add_co_i32 s22, s3, 1
	s_cmp_ge_u32 s21, s2
	s_mul_i32 s23, s7, s6
	s_cselect_b32 s24, s22, s3
	s_abs_i32 s22, s6
	s_abs_i32 s6, s23
	s_cvt_f32_u32 s2, s22
	s_cvt_f32_u32 s3, s6
	s_mov_b32 s21, 0
	s_delay_alu instid0(SALU_CYCLE_1) | instskip(NEXT) | instid1(SALU_CYCLE_1)
	v_rcp_iflag_f32_e32 v1, s2
	v_rcp_iflag_f32_e32 v2, s3
	s_mov_b32 s3, exec_lo
	s_delay_alu instid0(TRANS32_DEP_2) | instskip(NEXT) | instid1(TRANS32_DEP_1)
	v_readfirstlane_b32 s2, v1
	v_readfirstlane_b32 s25, v2
	v_cmpx_gt_i32_e64 s62, v0
	s_cbranch_execz .LBB0_57
; %bb.1:
	s_ashr_i32 s28, s33, 31
	s_ashr_i32 s29, s7, 31
	s_mul_f32 s27, s2, 0x4f7ffffe
	s_load_b64 s[2:3], s[0:1], 0x58
	s_xor_b32 s26, s28, s29
	s_mul_f32 s25, s25, 0x4f7ffffe
	s_xor_b32 s24, s24, s26
	s_ashr_i32 s36, s23, 31
	s_sub_co_i32 s31, s24, s26
	s_cvt_u32_f32 s26, s27
	s_sub_co_i32 s24, 0, s22
	s_cvt_u32_f32 s30, s25
	s_mov_b32 s25, s21
	s_mul_i32 s27, s24, s26
	s_abs_i32 s24, s31
	s_mul_hi_u32 s27, s26, s27
	s_ashr_i32 s35, s31, 31
	s_add_co_i32 s26, s26, s27
	s_sub_co_i32 s27, 0, s6
	s_mul_i32 s31, s31, s7
	s_mul_i32 s34, s27, s30
	s_mov_b32 s27, s21
	s_mul_hi_u32 s34, s30, s34
	s_mul_u64 s[26:27], s[24:25], s[26:27]
	s_add_co_i32 s30, s30, s34
	s_wait_kmcnt 0x0
	s_bitcmp1_b32 s2, 0
	s_mul_i32 s23, s27, s22
	s_cselect_b32 s2, -1, 0
	s_sub_co_i32 s23, s24, s23
	s_sub_co_i32 s34, s33, s31
	;; [unrolled: 1-line block ×3, first 2 shown]
	s_cmp_ge_u32 s23, s22
	s_mov_b32 s31, s21
	s_cselect_b32 s23, s24, s23
	s_mov_b32 s26, s5
	s_sub_co_i32 s24, s23, s22
	s_cmp_ge_u32 s23, s22
	v_dual_mov_b32 v3, 0 :: v_dual_mov_b32 v4, v0
	s_cselect_b32 s22, s24, s23
	s_delay_alu instid0(SALU_CYCLE_1)
	s_xor_b32 s24, s22, s35
	s_mul_u64 s[22:23], s[20:21], s[30:31]
	s_sub_co_i32 s30, s24, s35
	s_mul_i32 s22, s23, s6
	s_xor_b32 s24, s28, s36
	s_sub_co_i32 s20, s20, s22
	s_add_co_i32 s22, s23, 1
	s_sub_co_i32 s25, s20, s6
	s_cmp_ge_u32 s20, s6
	s_mov_b32 s28, s7
	s_cselect_b32 s22, s22, s23
	s_cselect_b32 s20, s25, s20
	s_add_co_i32 s23, s22, 1
	s_cmp_ge_u32 s20, s6
	s_cselect_b32 s6, s23, s22
	s_mul_i32 s22, s19, s8
	s_xor_b32 s6, s6, s24
	s_ashr_i32 s31, s30, 31
	s_sub_co_i32 s36, s6, s24
	s_ashr_i32 s23, s22, 31
	s_ashr_i32 s37, s36, 31
	;; [unrolled: 1-line block ×3, first 2 shown]
	s_mov_b32 s24, s8
	s_mul_u64 s[38:39], s[30:31], s[22:23]
	s_ashr_i32 s23, s4, 31
	s_mov_b32 s22, s4
	s_ashr_i32 s27, s5, 31
	s_mul_u64 s[40:41], s[36:37], s[24:25]
	s_mul_u64 s[4:5], s[26:27], s[22:23]
	s_add_nc_u64 s[38:39], s[40:41], s[38:39]
	s_mul_i32 s6, s19, s7
	s_mul_u64 s[4:5], s[4:5], s[38:39]
	s_ashr_i32 s35, s34, 31
	s_lshl_b64 s[44:45], s[4:5], 2
	s_mul_u64 s[4:5], s[36:37], s[28:29]
	s_ashr_i32 s7, s6, 31
	s_add_nc_u64 s[36:37], s[4:5], s[34:35]
	s_mul_u64 s[6:7], s[30:31], s[6:7]
	s_ashr_i32 s29, s9, 31
	s_mov_b32 s28, s9
	s_ashr_i32 s5, s10, 31
	s_mov_b32 s4, s10
	s_add_nc_u64 s[30:31], s[36:37], s[6:7]
	s_mul_u64 s[28:29], s[4:5], s[28:29]
	s_ashr_i32 s7, s17, 31
	s_mul_u64 s[28:29], s[28:29], s[30:31]
	s_ashr_i32 s19, s18, 31
	s_lshl_b64 s[28:29], s[28:29], 2
	s_cmp_gt_i32 s8, 0
	s_clause 0x1
	s_load_b128 s[40:43], s[0:1], 0x0
	s_load_b64 s[30:31], s[0:1], 0x10
	s_cselect_b32 s63, -1, 0
	s_cmp_gt_i32 s17, 0
	s_mov_b32 s35, s21
	s_cselect_b32 s64, -1, 0
	s_cmp_gt_i32 s18, 0
	s_cselect_b32 s65, -1, 0
	s_abs_i32 s10, s10
	s_lshl_b64 s[46:47], s[18:19], 1
	s_cvt_f32_u32 s6, s10
	s_sub_co_i32 s34, 0, s10
	s_delay_alu instid0(SALU_CYCLE_2) | instskip(SKIP_4) | instid1(TRANS32_DEP_1)
	v_rcp_iflag_f32_e32 v1, s6
	s_wait_kmcnt 0x0
	s_add_nc_u64 s[8:9], s[40:41], s[44:45]
	s_add_nc_u64 s[28:29], s[30:31], s[28:29]
	v_nop
	v_readfirstlane_b32 s6, v1
	s_add_nc_u64 s[30:31], s[0:1], 0x60
	s_mul_u64 s[0:1], s[38:39], s[26:27]
	v_mov_b32_e32 v1, 0x7f800000
	s_mul_u64 s[0:1], s[0:1], s[22:23]
	s_mul_f32 s6, s6, 0x4f7ffffe
	s_lshl_b64 s[0:1], s[0:1], 2
	s_delay_alu instid0(SALU_CYCLE_2) | instskip(SKIP_1) | instid1(SALU_CYCLE_1)
	s_cvt_u32_f32 s20, s6
	s_mov_b32 s6, s17
	s_mul_u64 s[44:45], s[18:19], s[6:7]
	s_delay_alu instid0(SALU_CYCLE_1)
	s_mul_i32 s34, s34, s20
	s_mul_u64 s[38:39], s[44:45], s[36:37]
	s_add_nc_u64 s[36:37], s[40:41], s[0:1]
	s_mul_u64 s[0:1], s[38:39], s[24:25]
	s_mul_hi_u32 s17, s20, s34
	s_lshl_b64 s[0:1], s[0:1], 1
	s_add_co_i32 s34, s20, s17
	s_lshl_b64 s[38:39], s[44:45], 2
	s_lshl_b64 s[40:41], s[18:19], 2
	s_add_nc_u64 s[42:43], s[42:43], s[0:1]
	s_lshl_b64 s[44:45], s[44:45], 1
	s_mov_b32 s7, 0
	s_branch .LBB0_4
.LBB0_2:                                ;   in Loop: Header=BB0_4 Depth=1
	s_delay_alu instid0(VALU_DEP_2)
	v_cvt_f32_f64_e32 v2, v[10:11]
.LBB0_3:                                ;   in Loop: Header=BB0_4 Depth=1
	v_dual_ashrrev_i32 v9, 31, v8 :: v_dual_mov_b32 v7, v3
	v_add_nc_u32_e32 v4, 0x100, v4
	s_delay_alu instid0(VALU_DEP_2) | instskip(NEXT) | instid1(VALU_DEP_2)
	v_mul_u64_e32 v[8:9], s[4:5], v[8:9]
	v_cmp_le_i32_e32 vcc_lo, s62, v4
	s_or_b32 s7, vcc_lo, s7
	s_delay_alu instid0(VALU_DEP_2) | instskip(NEXT) | instid1(VALU_DEP_1)
	v_lshl_add_u64 v[8:9], v[8:9], 2, s[28:29]
	v_lshl_add_u64 v[6:7], v[6:7], 2, v[8:9]
	global_store_b32 v[6:7], v2, off
	s_wait_xcnt 0x0
	s_and_not1_b32 exec_lo, exec_lo, s7
	s_cbranch_execz .LBB0_57
.LBB0_4:                                ; =>This Loop Header: Depth=1
                                        ;     Child Loop BB0_7 Depth 2
                                        ;       Child Loop BB0_10 Depth 3
                                        ;         Child Loop BB0_17 Depth 4
	v_mov_b32_e32 v5, v3
	s_delay_alu instid0(VALU_DEP_1) | instskip(NEXT) | instid1(VALU_DEP_1)
	v_mul_u64_e32 v[6:7], s[34:35], v[4:5]
	v_mul_lo_u32 v2, v7, s10
	s_delay_alu instid0(VALU_DEP_1) | instskip(NEXT) | instid1(VALU_DEP_1)
	v_sub_nc_u32_e32 v2, v4, v2
	v_subrev_nc_u32_e32 v6, s10, v2
	v_cmp_le_u32_e32 vcc_lo, s10, v2
	s_delay_alu instid0(VALU_DEP_2) | instskip(NEXT) | instid1(VALU_DEP_1)
	v_dual_cndmask_b32 v2, v2, v6 :: v_dual_add_nc_u32 v5, 1, v7
	v_cndmask_b32_e32 v5, v7, v5, vcc_lo
	s_delay_alu instid0(VALU_DEP_2) | instskip(NEXT) | instid1(VALU_DEP_2)
	v_cmp_le_u32_e32 vcc_lo, s10, v2
	v_add_nc_u32_e32 v6, 1, v5
	s_delay_alu instid0(VALU_DEP_1) | instskip(SKIP_1) | instid1(VALU_DEP_1)
	v_cndmask_b32_e32 v2, v5, v6, vcc_lo
	s_and_not1_b32 vcc_lo, exec_lo, s63
	v_xor_b32_e32 v2, s5, v2
	s_delay_alu instid0(VALU_DEP_1) | instskip(NEXT) | instid1(VALU_DEP_1)
	v_subrev_nc_u32_e32 v8, s5, v2
	v_mul_lo_u32 v2, v8, s4
	s_delay_alu instid0(VALU_DEP_1)
	v_dual_sub_nc_u32 v6, v4, v2 :: v_dual_mov_b32 v2, v3
	s_cbranch_vccnz .LBB0_3
; %bb.5:                                ;   in Loop: Header=BB0_4 Depth=1
	v_mul_lo_u32 v2, v8, s11
	s_delay_alu instid0(VALU_DEP_2) | instskip(SKIP_4) | instid1(VALU_DEP_3)
	v_mul_lo_u32 v7, v6, s12
	v_mov_b64_e32 v[10:11], 0
	s_mov_b32 s20, 0
	s_mov_b64 s[48:49], s[42:43]
	s_mov_b64 s[50:51], s[36:37]
	v_subrev_nc_u32_e32 v5, s15, v2
	s_delay_alu instid0(VALU_DEP_3)
	v_subrev_nc_u32_e32 v7, s16, v7
	s_branch .LBB0_7
.LBB0_6:                                ;   in Loop: Header=BB0_7 Depth=2
	s_add_co_i32 s20, s20, 1
	s_add_nc_u64 s[50:51], s[50:51], s[38:39]
	s_cmp_eq_u32 s20, s24
	s_add_nc_u64 s[48:49], s[48:49], s[44:45]
	s_cbranch_scc1 .LBB0_2
.LBB0_7:                                ;   Parent Loop BB0_4 Depth=1
                                        ; =>  This Loop Header: Depth=2
                                        ;       Child Loop BB0_10 Depth 3
                                        ;         Child Loop BB0_17 Depth 4
	s_and_not1_b32 vcc_lo, exec_lo, s64
	s_cbranch_vccnz .LBB0_6
; %bb.8:                                ;   in Loop: Header=BB0_7 Depth=2
	s_mul_u64 s[52:53], s[20:21], s[22:23]
	s_mov_b32 s17, 0
	s_mov_b64 s[54:55], s[48:49]
	s_mov_b64 s[56:57], s[50:51]
	s_branch .LBB0_10
.LBB0_9:                                ;   in Loop: Header=BB0_10 Depth=3
	s_add_co_i32 s17, s17, 1
	s_add_nc_u64 s[56:57], s[56:57], s[40:41]
	s_cmp_eq_u32 s17, s6
	s_add_nc_u64 s[54:55], s[54:55], s[46:47]
	s_cbranch_scc1 .LBB0_6
.LBB0_10:                               ;   Parent Loop BB0_4 Depth=1
                                        ;     Parent Loop BB0_7 Depth=2
                                        ; =>    This Loop Header: Depth=3
                                        ;         Child Loop BB0_17 Depth 4
	s_and_not1_b32 vcc_lo, exec_lo, s65
	s_cbranch_vccnz .LBB0_9
; %bb.11:                               ;   in Loop: Header=BB0_10 Depth=3
	v_mad_u32 v2, s17, s13, v5
	s_mov_b64 s[58:59], s[54:55]
	s_mov_b64 s[60:61], s[56:57]
	s_mov_b32 s25, s18
	s_delay_alu instid0(VALU_DEP_1)
	v_add_nc_u64_e32 v[12:13], s[52:53], v[2:3]
	v_cmp_gt_i32_e32 vcc_lo, 0, v2
	v_cmp_le_i32_e64 s0, s22, v2
	v_mov_b32_e32 v2, v7
	s_or_b32 s19, vcc_lo, s0
	v_mul_u64_e32 v[12:13], s[26:27], v[12:13]
	s_delay_alu instid0(VALU_DEP_1)
	v_lshl_add_u64 v[12:13], v[12:13], 2, s[8:9]
	s_branch .LBB0_17
.LBB0_12:                               ;   in Loop: Header=BB0_17 Depth=4
	s_or_b32 exec_lo, exec_lo, s68
	s_delay_alu instid0(VALU_DEP_1) | instskip(SKIP_1) | instid1(VALU_DEP_2)
	v_dual_lshlrev_b32 v9, 24, v14 :: v_dual_lshlrev_b32 v14, 20, v17
	v_lshl_add_u32 v15, v18, 23, 0x3c000000
	v_and_b32_e32 v9, 0x80000000, v9
	s_delay_alu instid0(VALU_DEP_1)
	v_or3_b32 v15, v9, v15, v14
.LBB0_13:                               ;   in Loop: Header=BB0_17 Depth=4
	s_or_b32 exec_lo, exec_lo, s67
.LBB0_14:                               ;   in Loop: Header=BB0_17 Depth=4
	s_delay_alu instid0(SALU_CYCLE_1)
	s_or_b32 exec_lo, exec_lo, s1
.LBB0_15:                               ;   in Loop: Header=BB0_17 Depth=4
	s_delay_alu instid0(SALU_CYCLE_1) | instskip(SKIP_2) | instid1(VALU_DEP_1)
	s_or_b32 exec_lo, exec_lo, s0
	v_cvt_f64_f32_e32 v[16:17], v16
	v_cvt_f64_f32_e32 v[14:15], v15
	v_fmac_f64_e32 v[10:11], v[16:17], v[14:15]
.LBB0_16:                               ;   in Loop: Header=BB0_17 Depth=4
	s_or_b32 exec_lo, exec_lo, s66
	v_add_nc_u32_e32 v2, s14, v2
	s_add_co_i32 s25, s25, -1
	s_add_nc_u64 s[60:61], s[60:61], 4
	s_cmp_eq_u32 s25, 0
	s_add_nc_u64 s[58:59], s[58:59], 2
	s_cbranch_scc1 .LBB0_9
.LBB0_17:                               ;   Parent Loop BB0_4 Depth=1
                                        ;     Parent Loop BB0_7 Depth=2
                                        ;       Parent Loop BB0_10 Depth=3
                                        ; =>      This Inner Loop Header: Depth=4
	v_cmp_gt_i32_e32 vcc_lo, 0, v2
	v_cmp_le_i32_e64 s0, s26, v2
	s_or_b32 s0, vcc_lo, s0
	s_delay_alu instid0(SALU_CYCLE_1) | instskip(NEXT) | instid1(SALU_CYCLE_1)
	s_nor_b32 s0, s19, s0
	s_and_saveexec_b32 s66, s0
	s_cbranch_execz .LBB0_16
; %bb.18:                               ;   in Loop: Header=BB0_17 Depth=4
	v_lshl_add_u64 v[14:15], v[2:3], 2, v[12:13]
	v_mov_b32_e32 v17, 0
	s_and_not1_b32 vcc_lo, exec_lo, s2
	global_load_b32 v16, v[14:15], off
	s_wait_xcnt 0x0
	v_mov_b32_e32 v15, 0
	s_cbranch_vccnz .LBB0_20
; %bb.19:                               ;   in Loop: Header=BB0_17 Depth=4
	s_load_b32 s0, s[30:31], 0xc
	s_wait_loadcnt 0x0
	v_lshrrev_b32_e32 v9, 16, v16
	s_load_b32 s1, s[60:61], 0x0
	s_delay_alu instid0(VALU_DEP_1) | instskip(NEXT) | instid1(VALU_DEP_1)
	v_bitop3_b32 v9, v16, v9, 0xffff bitop3:0x6c
	v_dual_lshlrev_b32 v14, 11, v9 :: v_dual_lshrrev_b32 v9, 5, v9
	s_delay_alu instid0(VALU_DEP_1) | instskip(SKIP_2) | instid1(VALU_DEP_1)
	v_and_or_b32 v9, 0xf800, v14, v9
	s_wait_kmcnt 0x0
	s_and_b32 s0, s0, 0xffff
	v_mul_lo_u32 v9, 0x7000149, v9
	v_mad_u32 v15, s33, s0, v0
	s_lshr_b32 s0, s1, 21
	s_lshr_b32 s1, s1, 5
	s_delay_alu instid0(SALU_CYCLE_1) | instskip(NEXT) | instid1(SALU_CYCLE_1)
	s_xor_b32 s0, s0, s1
	s_mul_i32 s0, s0, 0x7000149
	s_delay_alu instid0(SALU_CYCLE_1) | instskip(NEXT) | instid1(VALU_DEP_2)
	s_xor_b32 s0, s3, s0
	v_xor_b32_e32 v9, s3, v9
	s_delay_alu instid0(VALU_DEP_2) | instskip(NEXT) | instid1(VALU_DEP_1)
	v_mul_lo_u32 v14, 0x3819f, v15
	v_xor3_b32 v17, v9, v14, 0x13371337
	v_xor3_b32 v15, 0x13371337, s0, v14
.LBB0_20:                               ;   in Loop: Header=BB0_17 Depth=4
	s_wait_loadcnt 0x0
	v_lshrrev_b32_e32 v9, 24, v16
	v_and_b32_e32 v19, 0x7f800000, v16
	v_and_b32_e32 v18, 0x7fffff, v16
	s_mov_b32 s0, exec_lo
	s_delay_alu instid0(VALU_DEP_3) | instskip(NEXT) | instid1(VALU_DEP_3)
	v_and_b32_e32 v14, 0x80, v9
                                        ; implicit-def: $vgpr9
	v_cmpx_ne_u32_e32 0x7f800000, v19
	s_xor_b32 s67, exec_lo, s0
	s_cbranch_execz .LBB0_28
; %bb.21:                               ;   in Loop: Header=BB0_17 Depth=4
	v_mov_b32_e32 v9, 0
	s_mov_b32 s68, exec_lo
	v_cmpx_ne_u32_e32 0, v16
	s_cbranch_execz .LBB0_27
; %bb.22:                               ;   in Loop: Header=BB0_17 Depth=4
	v_bfe_u32 v9, v16, 23, 8
	v_or_b32_e32 v19, 0x800000, v18
	s_delay_alu instid0(VALU_DEP_2) | instskip(SKIP_1) | instid1(VALU_DEP_2)
	v_sub_nc_u32_e32 v16, 0x79, v9
	v_cmp_gt_u32_e32 vcc_lo, 0x7a, v9
	v_cndmask_b32_e32 v16, 0, v16, vcc_lo
	v_cmp_eq_u32_e32 vcc_lo, 0, v9
	v_dual_cndmask_b32 v18, v19, v18 :: v_dual_add_nc_u32 v9, 0xffffff88, v9
	s_delay_alu instid0(VALU_DEP_3) | instskip(NEXT) | instid1(VALU_DEP_2)
	v_cndmask_b32_e64 v16, v16, 0x78, vcc_lo
	v_cndmask_b32_e64 v9, v9, 0xffffff89, vcc_lo
	s_delay_alu instid0(VALU_DEP_2) | instskip(NEXT) | instid1(VALU_DEP_4)
	v_lshl_add_u32 v19, 0x100000, v16, -1
	v_lshrrev_b32_e32 v20, v16, v18
	v_lshlrev_b32_e64 v21, v16, 0x80000
	v_cmp_lt_u32_e64 s0, 3, v16
	s_delay_alu instid0(VALU_DEP_4) | instskip(NEXT) | instid1(VALU_DEP_4)
	v_and_b32_e32 v18, v19, v18
	v_bfe_u32 v19, v20, 20, 1
	v_cndmask_b32_e64 v17, v20, v17, s2
	s_or_b32 s0, s2, s0
	s_delay_alu instid0(VALU_DEP_3) | instskip(NEXT) | instid1(VALU_DEP_3)
	v_cmp_ne_u32_e64 s1, v18, v21
	v_add3_u32 v18, v20, v19, -1
	v_lshrrev_b32_e32 v19, 23, v20
	s_or_b32 vcc_lo, s0, s1
	s_mov_b32 s0, exec_lo
	s_delay_alu instid0(VALU_DEP_2) | instskip(SKIP_1) | instid1(VALU_DEP_2)
	v_cndmask_b32_e32 v18, v18, v17, vcc_lo
	v_add_nc_u32_e32 v17, v16, v9
                                        ; implicit-def: $vgpr16
	v_and_b32_e32 v9, 0xfffff, v18
	s_delay_alu instid0(VALU_DEP_1) | instskip(NEXT) | instid1(VALU_DEP_1)
	v_dual_add_nc_u32 v9, v9, v20 :: v_dual_bitop2_b32 v18, 1, v19 bitop3:0x14
	v_cmpx_ne_u32_e64 v17, v18
	s_xor_b32 s0, exec_lo, s0
; %bb.23:                               ;   in Loop: Header=BB0_17 Depth=4
	s_delay_alu instid0(VALU_DEP_2) | instskip(SKIP_2) | instid1(VALU_DEP_1)
	v_cmp_lt_u32_e32 vcc_lo, 0xffffff, v9
	v_sub_nc_u32_e32 v16, v17, v18
	v_cndmask_b32_e64 v17, 0, 1, vcc_lo
	v_lshrrev_b32_e32 v9, v17, v9
	s_delay_alu instid0(VALU_DEP_3)
	v_add_co_ci_u32_e64 v16, null, 0, v16, vcc_lo
; %bb.24:                               ;   in Loop: Header=BB0_17 Depth=4
	s_and_not1_saveexec_b32 s0, s0
; %bb.25:                               ;   in Loop: Header=BB0_17 Depth=4
	s_delay_alu instid0(VALU_DEP_2)
	v_bfe_u32 v16, v9, 23, 1
; %bb.26:                               ;   in Loop: Header=BB0_17 Depth=4
	s_or_b32 exec_lo, exec_lo, s0
	s_delay_alu instid0(VALU_DEP_1) | instskip(SKIP_1) | instid1(VALU_DEP_2)
	v_dual_lshrrev_b32 v9, 20, v9 :: v_dual_min_i32 v17, 14, v16
	v_cmp_gt_i32_e32 vcc_lo, 15, v16
	v_lshlrev_b32_e32 v17, 3, v17
	s_delay_alu instid0(VALU_DEP_3) | instskip(NEXT) | instid1(VALU_DEP_1)
	v_cndmask_b32_e32 v9, 7, v9, vcc_lo
	v_or_b32_e32 v16, v16, v9
	s_delay_alu instid0(VALU_DEP_3) | instskip(NEXT) | instid1(VALU_DEP_2)
	v_and_or_b32 v9, v9, 7, v17
	v_cmp_ne_u32_e32 vcc_lo, 0, v16
	s_delay_alu instid0(VALU_DEP_2) | instskip(NEXT) | instid1(VALU_DEP_1)
	v_cndmask_b32_e32 v9, 0, v9, vcc_lo
	v_or_b32_e32 v9, v9, v14
.LBB0_27:                               ;   in Loop: Header=BB0_17 Depth=4
	s_or_b32 exec_lo, exec_lo, s68
                                        ; implicit-def: $vgpr18
                                        ; implicit-def: $vgpr14
.LBB0_28:                               ;   in Loop: Header=BB0_17 Depth=4
	s_and_not1_saveexec_b32 s0, s67
; %bb.29:                               ;   in Loop: Header=BB0_17 Depth=4
	v_cmp_ne_u32_e32 vcc_lo, 0, v18
	v_cndmask_b32_e64 v9, 0, 1, vcc_lo
	s_delay_alu instid0(VALU_DEP_1) | instskip(NEXT) | instid1(VALU_DEP_1)
	v_or_b32_e32 v9, v14, v9
	v_or_b32_e32 v9, 0x78, v9
; %bb.30:                               ;   in Loop: Header=BB0_17 Depth=4
	s_or_b32 exec_lo, exec_lo, s0
	global_load_u16 v16, v3, s[58:59]
                                        ; implicit-def: $vgpr14
	s_wait_loadcnt 0x0
	v_readfirstlane_b32 s0, v16
	s_and_b32 s67, 0xffff, s0
	s_delay_alu instid0(SALU_CYCLE_1)
	s_lshr_b32 s1, s67, 8
	s_and_b32 s68, s67, 0x7c00
	s_and_b32 s0, s67, 0x3ff
	s_and_b32 s1, s1, 0x80
	s_cmp_lg_u32 s68, 0x7c00
	s_mov_b32 s68, -1
	s_cbranch_scc0 .LBB0_37
; %bb.31:                               ;   in Loop: Header=BB0_17 Depth=4
	v_and_b32_e32 v14, 0xffff, v16
	s_delay_alu instid0(VALU_DEP_1)
	v_cmp_eq_u32_e32 vcc_lo, 0, v14
	s_cbranch_vccnz .LBB0_56
; %bb.32:                               ;   in Loop: Header=BB0_17 Depth=4
	s_bfe_u32 s67, s67, 0x5000a
                                        ; implicit-def: $vgpr16
	s_delay_alu instid0(SALU_CYCLE_1)
	s_sub_co_i32 s68, 9, s67
	s_cmp_lt_u32 s67, 10
	s_cselect_b32 s68, s68, 0
	s_or_b32 s69, s0, 0x400
	s_add_co_i32 s70, s67, -8
	s_cmp_eq_u32 s67, 0
	s_cselect_b32 s68, 8, s68
	s_cselect_b32 s67, s0, s69
	s_cselect_b32 s69, -7, s70
	s_cmp_gt_u32 s68, 3
	s_cselect_b32 s70, -1, 0
	s_lshl_b32 s71, 0x80, s68
	s_lshl_b32 s72, 64, s68
	s_add_co_i32 s71, s71, -1
	s_delay_alu instid0(SALU_CYCLE_1) | instskip(NEXT) | instid1(SALU_CYCLE_1)
	s_and_b32 s71, s71, s67
	s_cmp_lg_u32 s71, s72
	s_cselect_b32 s71, -1, 0
	s_lshr_b32 s67, s67, s68
	s_or_b32 s70, s2, s70
	s_bfe_u32 s72, s67, 0x10007
	v_cndmask_b32_e64 v14, s67, v15, s2
	s_add_co_i32 s72, s67, s72
	s_or_b32 vcc_lo, s70, s71
	s_add_co_i32 s72, s72, -1
	s_lshr_b32 s70, s67, 10
	v_cndmask_b32_e32 v14, s72, v14, vcc_lo
	s_add_co_i32 s68, s68, s69
	s_xor_b32 s69, s70, 1
                                        ; implicit-def: $vgpr15
	s_delay_alu instid0(SALU_CYCLE_1) | instskip(NEXT) | instid1(VALU_DEP_1)
	s_cmp_lg_u32 s68, s69
	v_and_b32_e32 v14, 0x7f, v14
	s_delay_alu instid0(VALU_DEP_1)
	v_add_nc_u32_e32 v14, s67, v14
	s_mov_b32 s67, -1
	s_cbranch_scc0 .LBB0_34
; %bb.33:                               ;   in Loop: Header=BB0_17 Depth=4
	s_delay_alu instid0(VALU_DEP_1)
	v_cmp_lt_u32_e32 vcc_lo, 0x7ff, v14
	s_sub_co_i32 s67, s68, s69
	v_cndmask_b32_e64 v16, 0, 1, vcc_lo
	v_add_co_ci_u32_e64 v15, null, s67, 0, vcc_lo
	s_mov_b32 s67, 0
	v_lshrrev_b32_e32 v16, v16, v14
.LBB0_34:                               ;   in Loop: Header=BB0_17 Depth=4
	s_and_not1_b32 vcc_lo, exec_lo, s67
	s_cbranch_vccnz .LBB0_36
; %bb.35:                               ;   in Loop: Header=BB0_17 Depth=4
	v_bfe_u32 v15, v14, 10, 1
	v_mov_b32_e32 v16, v14
.LBB0_36:                               ;   in Loop: Header=BB0_17 Depth=4
	s_delay_alu instid0(VALU_DEP_1) | instskip(SKIP_2) | instid1(VALU_DEP_2)
	v_dual_lshrrev_b32 v14, 7, v16 :: v_dual_min_i32 v16, 14, v15
	v_cmp_gt_i32_e32 vcc_lo, 15, v15
	s_mov_b32 s68, 0
	v_dual_lshlrev_b32 v16, 3, v16 :: v_dual_cndmask_b32 v14, 7, v14, vcc_lo
	s_delay_alu instid0(VALU_DEP_1) | instskip(NEXT) | instid1(VALU_DEP_2)
	v_or_b32_e32 v15, v15, v14
	v_and_or_b32 v14, v14, 7, v16
	s_delay_alu instid0(VALU_DEP_2) | instskip(NEXT) | instid1(VALU_DEP_2)
	v_cmp_ne_u32_e32 vcc_lo, 0, v15
	v_cndmask_b32_e32 v14, 0, v14, vcc_lo
	s_delay_alu instid0(VALU_DEP_1)
	v_or_b32_e32 v14, s1, v14
.LBB0_37:                               ;   in Loop: Header=BB0_17 Depth=4
	s_and_not1_b32 vcc_lo, exec_lo, s68
	s_cbranch_vccnz .LBB0_39
.LBB0_38:                               ;   in Loop: Header=BB0_17 Depth=4
	s_cmp_lg_u32 s0, 0
	s_cselect_b32 s0, -1, 0
	s_delay_alu instid0(SALU_CYCLE_1) | instskip(NEXT) | instid1(VALU_DEP_1)
	v_cndmask_b32_e64 v14, 0, 1, s0
	v_or_b32_e32 v14, s1, v14
	s_delay_alu instid0(VALU_DEP_1)
	v_or_b32_e32 v14, 0x78, v14
.LBB0_39:                               ;   in Loop: Header=BB0_17 Depth=4
	v_and_b32_e32 v17, 0xff, v9
	v_dual_mov_b32 v15, 0 :: v_dual_mov_b32 v16, 0
	s_mov_b32 s0, exec_lo
	s_wait_xcnt 0x0
	s_delay_alu instid0(VALU_DEP_2)
	v_cmpx_ne_u16_e32 0, v17
	s_cbranch_execz .LBB0_49
; %bb.40:                               ;   in Loop: Header=BB0_17 Depth=4
	v_bfrev_b32_e32 v16, 1
	s_mov_b32 s1, exec_lo
	v_cmpx_ne_u16_e32 0x80, v17
	s_cbranch_execz .LBB0_48
; %bb.41:                               ;   in Loop: Header=BB0_17 Depth=4
	v_lshrrev_b16 v16, 3, v9
	v_and_b32_e32 v18, 7, v9
	s_mov_b32 s67, exec_lo
	s_delay_alu instid0(VALU_DEP_2) | instskip(NEXT) | instid1(VALU_DEP_1)
	v_and_b32_e32 v19, 15, v16
                                        ; implicit-def: $vgpr16
	v_cmpx_lt_i32_e32 14, v19
	s_xor_b32 s67, exec_lo, s67
; %bb.42:                               ;   in Loop: Header=BB0_17 Depth=4
	v_bfe_i32 v9, v9, 0, 8
                                        ; implicit-def: $vgpr19
                                        ; implicit-def: $vgpr17
	s_delay_alu instid0(VALU_DEP_1) | instskip(SKIP_2) | instid1(VALU_DEP_2)
	v_cmp_lt_i16_e32 vcc_lo, -1, v9
	v_cndmask_b32_e32 v9, 0xff800000, v1, vcc_lo
	v_cmp_eq_u32_e32 vcc_lo, 0, v18
                                        ; implicit-def: $vgpr18
	v_cndmask_b32_e32 v16, 0x7f800001, v9, vcc_lo
                                        ; implicit-def: $vgpr9
; %bb.43:                               ;   in Loop: Header=BB0_17 Depth=4
	s_and_not1_saveexec_b32 s67, s67
	s_cbranch_execz .LBB0_47
; %bb.44:                               ;   in Loop: Header=BB0_17 Depth=4
	s_mov_b32 s68, exec_lo
	v_cmpx_eq_u32_e32 0, v19
; %bb.45:                               ;   in Loop: Header=BB0_17 Depth=4
	v_clz_i32_u32_e32 v16, v18
	s_delay_alu instid0(VALU_DEP_1) | instskip(NEXT) | instid1(VALU_DEP_1)
	v_subrev_nc_u32_e32 v18, 28, v16
	v_dual_sub_nc_u32 v19, 29, v16 :: v_dual_lshlrev_b32 v17, v18, v17
	s_delay_alu instid0(VALU_DEP_1)
	v_and_b32_e32 v18, 7, v17
; %bb.46:                               ;   in Loop: Header=BB0_17 Depth=4
	s_or_b32 exec_lo, exec_lo, s68
	s_delay_alu instid0(VALU_DEP_1) | instskip(NEXT) | instid1(VALU_DEP_3)
	v_dual_lshlrev_b32 v9, 24, v9 :: v_dual_lshlrev_b32 v16, 20, v18
	v_lshl_add_u32 v17, v19, 23, 0x3c000000
	s_delay_alu instid0(VALU_DEP_2) | instskip(NEXT) | instid1(VALU_DEP_1)
	v_and_b32_e32 v9, 0x80000000, v9
	v_or3_b32 v16, v9, v17, v16
.LBB0_47:                               ;   in Loop: Header=BB0_17 Depth=4
	s_or_b32 exec_lo, exec_lo, s67
.LBB0_48:                               ;   in Loop: Header=BB0_17 Depth=4
	s_delay_alu instid0(SALU_CYCLE_1)
	s_or_b32 exec_lo, exec_lo, s1
.LBB0_49:                               ;   in Loop: Header=BB0_17 Depth=4
	s_delay_alu instid0(SALU_CYCLE_1) | instskip(SKIP_2) | instid1(VALU_DEP_1)
	s_or_b32 exec_lo, exec_lo, s0
	v_and_b32_e32 v9, 0xff, v14
	s_mov_b32 s0, exec_lo
	v_cmpx_ne_u16_e32 0, v9
	s_cbranch_execz .LBB0_15
; %bb.50:                               ;   in Loop: Header=BB0_17 Depth=4
	v_bfrev_b32_e32 v15, 1
	s_mov_b32 s1, exec_lo
	v_cmpx_ne_u16_e32 0x80, v9
	s_cbranch_execz .LBB0_14
; %bb.51:                               ;   in Loop: Header=BB0_17 Depth=4
	v_lshrrev_b16 v15, 3, v14
	v_and_b32_e32 v17, 7, v14
	s_mov_b32 s67, exec_lo
	s_delay_alu instid0(VALU_DEP_2) | instskip(NEXT) | instid1(VALU_DEP_1)
	v_and_b32_e32 v18, 15, v15
                                        ; implicit-def: $vgpr15
	v_cmpx_lt_i32_e32 14, v18
	s_xor_b32 s67, exec_lo, s67
; %bb.52:                               ;   in Loop: Header=BB0_17 Depth=4
	v_bfe_i32 v9, v14, 0, 8
                                        ; implicit-def: $vgpr18
                                        ; implicit-def: $vgpr14
	s_delay_alu instid0(VALU_DEP_1) | instskip(SKIP_2) | instid1(VALU_DEP_2)
	v_cmp_lt_i16_e32 vcc_lo, -1, v9
	v_cndmask_b32_e32 v9, 0xff800000, v1, vcc_lo
	v_cmp_eq_u32_e32 vcc_lo, 0, v17
                                        ; implicit-def: $vgpr17
	v_cndmask_b32_e32 v15, 0x7f800001, v9, vcc_lo
                                        ; implicit-def: $vgpr9
; %bb.53:                               ;   in Loop: Header=BB0_17 Depth=4
	s_and_not1_saveexec_b32 s67, s67
	s_cbranch_execz .LBB0_13
; %bb.54:                               ;   in Loop: Header=BB0_17 Depth=4
	s_mov_b32 s68, exec_lo
	v_cmpx_eq_u32_e32 0, v18
	s_cbranch_execz .LBB0_12
; %bb.55:                               ;   in Loop: Header=BB0_17 Depth=4
	v_clz_i32_u32_e32 v15, v17
	s_delay_alu instid0(VALU_DEP_1) | instskip(NEXT) | instid1(VALU_DEP_1)
	v_subrev_nc_u32_e32 v17, 28, v15
	v_dual_sub_nc_u32 v18, 29, v15 :: v_dual_lshlrev_b32 v9, v17, v9
	s_delay_alu instid0(VALU_DEP_1)
	v_and_b32_e32 v17, 7, v9
	s_branch .LBB0_12
.LBB0_56:                               ;   in Loop: Header=BB0_17 Depth=4
	v_mov_b32_e32 v14, 0
	s_cbranch_execz .LBB0_38
	s_branch .LBB0_39
.LBB0_57:
	s_endpgm
	.section	.rodata,"a",@progbits
	.p2align	6, 0x0
	.amdhsa_kernel naive_conv_nonpacked_fwd_nchw_float_half_float
		.amdhsa_group_segment_fixed_size 0
		.amdhsa_private_segment_fixed_size 0
		.amdhsa_kernarg_size 352
		.amdhsa_user_sgpr_count 2
		.amdhsa_user_sgpr_dispatch_ptr 0
		.amdhsa_user_sgpr_queue_ptr 0
		.amdhsa_user_sgpr_kernarg_segment_ptr 1
		.amdhsa_user_sgpr_dispatch_id 0
		.amdhsa_user_sgpr_kernarg_preload_length 0
		.amdhsa_user_sgpr_kernarg_preload_offset 0
		.amdhsa_user_sgpr_private_segment_size 0
		.amdhsa_wavefront_size32 1
		.amdhsa_uses_dynamic_stack 0
		.amdhsa_enable_private_segment 0
		.amdhsa_system_sgpr_workgroup_id_x 1
		.amdhsa_system_sgpr_workgroup_id_y 0
		.amdhsa_system_sgpr_workgroup_id_z 0
		.amdhsa_system_sgpr_workgroup_info 0
		.amdhsa_system_vgpr_workitem_id 0
		.amdhsa_next_free_vgpr 22
		.amdhsa_next_free_sgpr 73
		.amdhsa_named_barrier_count 0
		.amdhsa_reserve_vcc 1
		.amdhsa_float_round_mode_32 0
		.amdhsa_float_round_mode_16_64 0
		.amdhsa_float_denorm_mode_32 3
		.amdhsa_float_denorm_mode_16_64 3
		.amdhsa_fp16_overflow 0
		.amdhsa_memory_ordered 1
		.amdhsa_forward_progress 1
		.amdhsa_inst_pref_size 23
		.amdhsa_round_robin_scheduling 0
		.amdhsa_exception_fp_ieee_invalid_op 0
		.amdhsa_exception_fp_denorm_src 0
		.amdhsa_exception_fp_ieee_div_zero 0
		.amdhsa_exception_fp_ieee_overflow 0
		.amdhsa_exception_fp_ieee_underflow 0
		.amdhsa_exception_fp_ieee_inexact 0
		.amdhsa_exception_int_div_zero 0
	.end_amdhsa_kernel
	.text
.Lfunc_end0:
	.size	naive_conv_nonpacked_fwd_nchw_float_half_float, .Lfunc_end0-naive_conv_nonpacked_fwd_nchw_float_half_float
                                        ; -- End function
	.set naive_conv_nonpacked_fwd_nchw_float_half_float.num_vgpr, 22
	.set naive_conv_nonpacked_fwd_nchw_float_half_float.num_agpr, 0
	.set naive_conv_nonpacked_fwd_nchw_float_half_float.numbered_sgpr, 73
	.set naive_conv_nonpacked_fwd_nchw_float_half_float.num_named_barrier, 0
	.set naive_conv_nonpacked_fwd_nchw_float_half_float.private_seg_size, 0
	.set naive_conv_nonpacked_fwd_nchw_float_half_float.uses_vcc, 1
	.set naive_conv_nonpacked_fwd_nchw_float_half_float.uses_flat_scratch, 0
	.set naive_conv_nonpacked_fwd_nchw_float_half_float.has_dyn_sized_stack, 0
	.set naive_conv_nonpacked_fwd_nchw_float_half_float.has_recursion, 0
	.set naive_conv_nonpacked_fwd_nchw_float_half_float.has_indirect_call, 0
	.section	.AMDGPU.csdata,"",@progbits
; Kernel info:
; codeLenInByte = 2904
; TotalNumSgprs: 75
; NumVgprs: 22
; ScratchSize: 0
; MemoryBound: 0
; FloatMode: 240
; IeeeMode: 1
; LDSByteSize: 0 bytes/workgroup (compile time only)
; SGPRBlocks: 0
; VGPRBlocks: 1
; NumSGPRsForWavesPerEU: 75
; NumVGPRsForWavesPerEU: 22
; NamedBarCnt: 0
; Occupancy: 16
; WaveLimiterHint : 0
; COMPUTE_PGM_RSRC2:SCRATCH_EN: 0
; COMPUTE_PGM_RSRC2:USER_SGPR: 2
; COMPUTE_PGM_RSRC2:TRAP_HANDLER: 0
; COMPUTE_PGM_RSRC2:TGID_X_EN: 1
; COMPUTE_PGM_RSRC2:TGID_Y_EN: 0
; COMPUTE_PGM_RSRC2:TGID_Z_EN: 0
; COMPUTE_PGM_RSRC2:TIDIG_COMP_CNT: 0
	.text
	.protected	naive_conv_nonpacked_bwd_nchw_float_half_float ; -- Begin function naive_conv_nonpacked_bwd_nchw_float_half_float
	.globl	naive_conv_nonpacked_bwd_nchw_float_half_float
	.p2align	8
	.type	naive_conv_nonpacked_bwd_nchw_float_half_float,@function
naive_conv_nonpacked_bwd_nchw_float_half_float: ; @naive_conv_nonpacked_bwd_nchw_float_half_float
; %bb.0:
	s_load_b512 s[4:19], s[0:1], 0x18
	s_bfe_u32 s2, ttmp6, 0x4000c
	s_and_b32 s3, ttmp6, 15
	s_add_co_i32 s2, s2, 1
	s_getreg_b32 s20, hwreg(HW_REG_IB_STS2, 6, 4)
	s_mul_i32 s2, ttmp9, s2
	s_mov_b32 s25, 0
	s_add_co_i32 s3, s3, s2
	s_cmp_eq_u32 s20, 0
	s_cselect_b32 s33, ttmp9, s3
	s_delay_alu instid0(SALU_CYCLE_1) | instskip(SKIP_2) | instid1(SALU_CYCLE_1)
	s_abs_i32 s24, s33
	s_wait_kmcnt 0x0
	s_abs_i32 s2, s8
	s_cvt_f32_u32 s3, s2
	s_sub_co_i32 s20, 0, s2
	s_delay_alu instid0(SALU_CYCLE_2) | instskip(SKIP_1) | instid1(TRANS32_DEP_1)
	v_rcp_iflag_f32_e32 v1, s3
	v_nop
	v_readfirstlane_b32 s3, v1
	s_mul_f32 s3, s3, 0x4f7ffffe
	s_delay_alu instid0(SALU_CYCLE_3) | instskip(NEXT) | instid1(SALU_CYCLE_3)
	s_cvt_u32_f32 s3, s3
	s_mul_i32 s20, s20, s3
	s_delay_alu instid0(SALU_CYCLE_1) | instskip(NEXT) | instid1(SALU_CYCLE_1)
	s_mul_hi_u32 s20, s3, s20
	s_add_co_i32 s3, s3, s20
	s_delay_alu instid0(SALU_CYCLE_1) | instskip(NEXT) | instid1(SALU_CYCLE_1)
	s_mul_hi_u32 s3, s24, s3
	s_mul_i32 s20, s3, s2
	s_add_co_i32 s21, s3, 1
	s_sub_co_i32 s20, s24, s20
	s_delay_alu instid0(SALU_CYCLE_1)
	s_sub_co_i32 s22, s20, s2
	s_cmp_ge_u32 s20, s2
	s_cselect_b32 s3, s21, s3
	s_cselect_b32 s20, s22, s20
	s_add_co_i32 s21, s3, 1
	s_cmp_ge_u32 s20, s2
	s_mul_i32 s22, s8, s6
	s_cselect_b32 s23, s21, s3
	s_abs_i32 s21, s6
	s_abs_i32 s20, s22
	s_cvt_f32_u32 s2, s21
	s_cvt_f32_u32 s3, s20
	s_mul_i32 s6, s5, s4
	s_delay_alu instid0(SALU_CYCLE_1) | instskip(NEXT) | instid1(SALU_CYCLE_1)
	v_rcp_iflag_f32_e32 v1, s2
	v_rcp_iflag_f32_e32 v2, s3
	s_mov_b32 s3, exec_lo
	s_delay_alu instid0(TRANS32_DEP_2) | instskip(NEXT) | instid1(TRANS32_DEP_1)
	v_readfirstlane_b32 s2, v1
	v_readfirstlane_b32 s26, v2
	v_cmpx_gt_i32_e64 s6, v0
	s_cbranch_execz .LBB1_69
; %bb.1:
	s_mul_f32 s28, s2, 0x4f7ffffe
	s_load_b64 s[2:3], s[0:1], 0x58
	s_ashr_i32 s30, s33, 31
	s_ashr_i32 s41, s8, 31
	s_mul_f32 s29, s26, 0x4f7ffffe
	s_xor_b32 s27, s30, s41
	s_ashr_i32 s36, s22, 31
	s_xor_b32 s23, s23, s27
	s_cvt_u32_f32 s34, s29
	s_sub_co_i32 s23, s23, s27
	s_cvt_u32_f32 s27, s28
	s_sub_co_i32 s28, 0, s21
	s_sub_co_i32 s29, 0, s20
	s_abs_i32 s26, s23
	s_mul_i32 s28, s28, s27
	s_mul_i32 s35, s29, s34
	s_mul_hi_u32 s28, s27, s28
	s_mov_b32 s29, s25
	s_add_co_i32 s28, s27, s28
	s_mov_b32 s27, s25
	s_mul_hi_u32 s35, s34, s35
	s_mul_u64 s[28:29], s[26:27], s[28:29]
	s_ashr_i32 s31, s23, 31
	s_add_co_i32 s22, s34, s35
	s_wait_kmcnt 0x0
	s_bitcmp1_b32 s2, 0
	s_mul_i32 s27, s29, s21
	s_cselect_b32 s2, -1, 0
	s_mul_i32 s23, s23, s8
	s_sub_co_i32 s26, s26, s27
	s_sub_co_i32 s38, s33, s23
	;; [unrolled: 1-line block ×3, first 2 shown]
	s_cmp_ge_u32 s26, s21
	s_mov_b32 s40, s8
	s_cselect_b32 s23, s23, s26
	v_dual_mov_b32 v3, 0 :: v_dual_mov_b32 v4, v0
	s_sub_co_i32 s26, s23, s21
	s_cmp_ge_u32 s23, s21
	s_load_b64 s[44:45], s[0:1], 0x10
	s_cselect_b32 s21, s26, s23
	s_mov_b32 s23, s25
	s_xor_b32 s21, s21, s31
	s_mul_u64 s[22:23], s[24:25], s[22:23]
	s_sub_co_i32 s22, s21, s31
	s_mul_i32 s21, s23, s20
	s_xor_b32 s26, s30, s36
	s_sub_co_i32 s21, s24, s21
	s_add_co_i32 s24, s23, 1
	s_sub_co_i32 s27, s21, s20
	s_cmp_ge_u32 s21, s20
	s_mov_b32 s30, s4
	s_cselect_b32 s23, s24, s23
	s_cselect_b32 s21, s27, s21
	s_add_co_i32 s24, s23, 1
	s_cmp_ge_u32 s21, s20
	s_mul_i32 s20, s19, s8
	s_cselect_b32 s21, s24, s23
	s_ashr_i32 s23, s22, 31
	s_xor_b32 s24, s21, s26
	s_ashr_i32 s21, s20, 31
	s_sub_co_i32 s28, s24, s26
	s_mul_u64 s[20:21], s[22:23], s[20:21]
	s_ashr_i32 s29, s28, 31
	s_ashr_i32 s39, s38, 31
	;; [unrolled: 1-line block ×4, first 2 shown]
	s_mul_u64 s[34:35], s[28:29], s[40:41]
	s_add_nc_u64 s[20:21], s[20:21], s[38:39]
	s_mov_b32 s26, s5
	s_add_nc_u64 s[20:21], s[20:21], s[34:35]
	s_mul_u64 s[30:31], s[26:27], s[30:31]
	s_mov_b32 s8, s10
	s_mul_u64 s[20:21], s[30:31], s[20:21]
	s_mul_i32 s30, s19, s7
	s_lshl_b64 s[34:35], s[20:21], 2
	s_ashr_i32 s21, s7, 31
	s_mov_b32 s20, s7
	s_ashr_i32 s31, s30, 31
	s_mul_u64 s[36:37], s[28:29], s[20:21]
	s_mul_u64 s[20:21], s[22:23], s[30:31]
	s_ashr_i32 s29, s9, 31
	s_mov_b32 s28, s9
	s_ashr_i32 s9, s10, 31
	s_add_nc_u64 s[20:21], s[36:37], s[20:21]
	s_mul_u64 s[22:23], s[8:9], s[28:29]
	s_ashr_i32 s31, s17, 31
	s_mul_u64 s[20:21], s[22:23], s[20:21]
	s_ashr_i32 s19, s18, 31
	s_lshl_b64 s[42:43], s[20:21], 2
	s_cmp_gt_i32 s7, 0
	s_load_b128 s[20:23], s[0:1], 0x0
	s_cselect_b32 s52, -1, 0
	s_cmp_gt_i32 s17, 0
	s_mov_b32 s30, s17
	s_cselect_b32 s53, -1, 0
	s_cmp_gt_i32 s18, 0
	s_mul_u64 s[46:47], s[36:37], s[40:41]
	s_cselect_b32 s54, -1, 0
	s_abs_i32 s55, s5
	s_abs_i32 s56, s11
	s_cvt_f32_u32 s4, s55
	s_abs_i32 s17, s12
	s_mov_b32 s37, s25
	s_cvt_f32_u32 s24, s17
	v_rcp_iflag_f32_e32 v1, s4
	s_cvt_f32_u32 s4, s56
	s_ashr_i32 s57, s11, 31
	s_mov_b32 s11, s25
	s_ashr_i32 s12, s12, 31
	v_nop
	s_delay_alu instid0(TRANS32_DEP_1)
	v_readfirstlane_b32 s10, v1
	v_rcp_iflag_f32_e32 v1, s4
	s_wait_kmcnt 0x0
	s_add_nc_u64 s[4:5], s[20:21], s[34:35]
	s_add_nc_u64 s[20:21], s[44:45], s[42:43]
	s_mul_u64 s[42:43], s[18:19], s[30:31]
	s_mul_f32 s10, s10, 0x4f7ffffe
	v_nop
	v_readfirstlane_b32 s34, v1
	v_rcp_iflag_f32_e32 v1, s24
	s_cvt_u32_f32 s10, s10
	s_sub_co_i32 s24, 0, s55
	s_mul_f32 s36, s34, 0x4f7ffffe
	s_delay_alu instid0(SALU_CYCLE_1)
	s_mul_i32 s24, s24, s10
	s_add_nc_u64 s[34:35], s[0:1], 0x60
	s_mul_hi_u32 s0, s10, s24
	v_nop
	v_readfirstlane_b32 s24, v1
	s_cvt_u32_f32 s1, s36
	s_add_co_i32 s36, s10, s0
	s_sub_co_i32 s0, 0, s56
	v_mov_b32_e32 v1, 0x7f800000
	s_mul_f32 s24, s24, 0x4f7ffffe
	s_mul_i32 s0, s0, s1
	s_delay_alu instid0(SALU_CYCLE_1) | instskip(NEXT) | instid1(SALU_CYCLE_1)
	s_mul_hi_u32 s0, s1, s0
	s_cvt_u32_f32 s24, s24
	s_add_co_i32 s10, s1, s0
	s_sub_co_i32 s0, 0, s17
	s_delay_alu instid0(SALU_CYCLE_1)
	s_mul_i32 s44, s0, s24
	s_add_nc_u64 s[0:1], s[46:47], s[38:39]
	s_mul_hi_u32 s31, s24, s44
	s_mul_u64 s[0:1], s[42:43], s[0:1]
	s_add_co_i32 s38, s24, s31
	s_lshl_b64 s[0:1], s[0:1], 1
	s_mov_b32 s39, s25
	s_add_nc_u64 s[22:23], s[22:23], s[0:1]
	s_mul_u64 s[0:1], s[42:43], s[40:41]
	s_lshl_b64 s[42:43], s[18:19], 1
	s_lshl_b64 s[40:41], s[0:1], 1
	s_mov_b32 s19, 0
	s_branch .LBB1_4
.LBB1_2:                                ;   in Loop: Header=BB1_4 Depth=1
	s_delay_alu instid0(VALU_DEP_2)
	v_cvt_f32_f64_e32 v2, v[10:11]
.LBB1_3:                                ;   in Loop: Header=BB1_4 Depth=1
	v_dual_ashrrev_i32 v9, 31, v8 :: v_dual_mov_b32 v7, v3
	v_add_nc_u32_e32 v4, 0x100, v4
	s_delay_alu instid0(VALU_DEP_2) | instskip(NEXT) | instid1(VALU_DEP_2)
	v_mul_u64_e32 v[8:9], s[26:27], v[8:9]
	v_cmp_le_i32_e32 vcc_lo, s6, v4
	s_or_b32 s19, vcc_lo, s19
	s_delay_alu instid0(VALU_DEP_2) | instskip(NEXT) | instid1(VALU_DEP_1)
	v_lshl_add_u64 v[8:9], v[8:9], 2, s[4:5]
	v_lshl_add_u64 v[6:7], v[6:7], 2, v[8:9]
	global_store_b32 v[6:7], v2, off
	s_wait_xcnt 0x0
	s_and_not1_b32 exec_lo, exec_lo, s19
	s_cbranch_execz .LBB1_69
.LBB1_4:                                ; =>This Loop Header: Depth=1
                                        ;     Child Loop BB1_7 Depth 2
                                        ;       Child Loop BB1_10 Depth 3
                                        ;         Child Loop BB1_23 Depth 4
	v_mov_b32_e32 v5, v3
	s_delay_alu instid0(VALU_DEP_1) | instskip(NEXT) | instid1(VALU_DEP_1)
	v_mul_u64_e32 v[6:7], s[36:37], v[4:5]
	v_mul_lo_u32 v2, v7, s55
	s_delay_alu instid0(VALU_DEP_1) | instskip(NEXT) | instid1(VALU_DEP_1)
	v_sub_nc_u32_e32 v2, v4, v2
	v_subrev_nc_u32_e32 v6, s55, v2
	v_cmp_le_u32_e32 vcc_lo, s55, v2
	s_delay_alu instid0(VALU_DEP_2) | instskip(NEXT) | instid1(VALU_DEP_1)
	v_dual_cndmask_b32 v2, v2, v6 :: v_dual_add_nc_u32 v5, 1, v7
	v_cndmask_b32_e32 v5, v7, v5, vcc_lo
	s_delay_alu instid0(VALU_DEP_2) | instskip(NEXT) | instid1(VALU_DEP_2)
	v_cmp_le_u32_e32 vcc_lo, s55, v2
	v_add_nc_u32_e32 v6, 1, v5
	s_delay_alu instid0(VALU_DEP_1) | instskip(SKIP_1) | instid1(VALU_DEP_1)
	v_cndmask_b32_e32 v2, v5, v6, vcc_lo
	s_and_not1_b32 vcc_lo, exec_lo, s52
	v_xor_b32_e32 v2, s27, v2
	s_delay_alu instid0(VALU_DEP_1) | instskip(NEXT) | instid1(VALU_DEP_1)
	v_subrev_nc_u32_e32 v8, s27, v2
	v_mul_lo_u32 v2, v8, s26
	s_delay_alu instid0(VALU_DEP_1)
	v_dual_sub_nc_u32 v6, v4, v2 :: v_dual_mov_b32 v2, v3
	s_cbranch_vccnz .LBB1_3
; %bb.5:                                ;   in Loop: Header=BB1_4 Depth=1
	v_mov_b64_e32 v[10:11], 0
	s_delay_alu instid0(VALU_DEP_2)
	v_dual_add_nc_u32 v5, s15, v8 :: v_dual_add_nc_u32 v7, s16, v6
	s_mov_b32 s24, 0
	s_mov_b64 s[44:45], s[22:23]
	s_branch .LBB1_7
.LBB1_6:                                ;   in Loop: Header=BB1_7 Depth=2
	s_add_co_i32 s24, s24, 1
	s_add_nc_u64 s[44:45], s[44:45], s[40:41]
	s_cmp_eq_u32 s24, s7
	s_cbranch_scc1 .LBB1_2
.LBB1_7:                                ;   Parent Loop BB1_4 Depth=1
                                        ; =>  This Loop Header: Depth=2
                                        ;       Child Loop BB1_10 Depth 3
                                        ;         Child Loop BB1_23 Depth 4
	s_and_not1_b32 vcc_lo, exec_lo, s53
	s_cbranch_vccnz .LBB1_6
; %bb.8:                                ;   in Loop: Header=BB1_7 Depth=2
	s_mul_u64 s[46:47], s[24:25], s[28:29]
	s_mov_b32 s31, 0
	s_mov_b64 s[48:49], s[44:45]
	s_branch .LBB1_10
.LBB1_9:                                ;   in Loop: Header=BB1_10 Depth=3
	s_add_co_i32 s31, s31, 1
	s_add_nc_u64 s[48:49], s[48:49], s[42:43]
	s_cmp_eq_u32 s31, s30
	s_cbranch_scc1 .LBB1_6
.LBB1_10:                               ;   Parent Loop BB1_4 Depth=1
                                        ;     Parent Loop BB1_7 Depth=2
                                        ; =>    This Loop Header: Depth=3
                                        ;         Child Loop BB1_23 Depth 4
	s_mul_i32 s0, s13, s31
	s_mov_b32 s1, exec_lo
	v_subrev_nc_u32_e32 v14, s0, v5
	s_mov_b32 s0, 0
                                        ; implicit-def: $vgpr9
                                        ; implicit-def: $vgpr13
                                        ; implicit-def: $vgpr2
                                        ; implicit-def: $vgpr12
	s_delay_alu instid0(VALU_DEP_1)
	v_cmpx_lt_i32_e32 -1, v14
	s_xor_b32 s1, exec_lo, s1
	s_cbranch_execnz .LBB1_14
; %bb.11:                               ;   in Loop: Header=BB1_10 Depth=3
	s_and_not1_saveexec_b32 s1, s1
	s_cbranch_execnz .LBB1_15
.LBB1_12:                               ;   in Loop: Header=BB1_10 Depth=3
	s_or_b32 exec_lo, exec_lo, s1
	v_mov_b32_e32 v14, 1
	s_and_saveexec_b32 s1, s0
	s_cbranch_execnz .LBB1_16
.LBB1_13:                               ;   in Loop: Header=BB1_10 Depth=3
	s_or_b32 exec_lo, exec_lo, s1
	s_delay_alu instid0(SALU_CYCLE_1)
	s_and_not1_b32 vcc_lo, exec_lo, s54
	s_cbranch_vccz .LBB1_17
	s_branch .LBB1_9
.LBB1_14:                               ;   in Loop: Header=BB1_10 Depth=3
	v_sub_nc_u32_e32 v2, 0, v14
	s_delay_alu instid0(VALU_DEP_1) | instskip(NEXT) | instid1(VALU_DEP_1)
	v_max_i32_e32 v2, v14, v2
	v_mul_u64_e32 v[12:13], s[10:11], v[2:3]
	s_delay_alu instid0(VALU_DEP_1) | instskip(NEXT) | instid1(VALU_DEP_1)
	v_mul_lo_u32 v9, v13, s56
	v_dual_sub_nc_u32 v2, v2, v9 :: v_dual_ashrrev_i32 v9, 31, v14
	s_delay_alu instid0(VALU_DEP_1) | instskip(SKIP_1) | instid1(VALU_DEP_2)
	v_subrev_nc_u32_e32 v12, s56, v2
	v_cmp_le_u32_e32 vcc_lo, s56, v2
	v_cndmask_b32_e32 v15, v2, v12, vcc_lo
	s_delay_alu instid0(VALU_DEP_1) | instskip(SKIP_1) | instid1(VALU_DEP_2)
	v_subrev_nc_u32_e32 v16, s56, v15
	v_cmp_le_u32_e32 vcc_lo, s56, v15
	v_cndmask_b32_e32 v14, v15, v16, vcc_lo
	s_delay_alu instid0(VALU_DEP_1) | instskip(NEXT) | instid1(VALU_DEP_1)
	v_xor_b32_e32 v14, v14, v9
	v_sub_nc_u32_e32 v14, v14, v9
	s_delay_alu instid0(VALU_DEP_1)
	v_cmp_ne_u32_e32 vcc_lo, 0, v14
                                        ; implicit-def: $vgpr14
	s_and_b32 s0, vcc_lo, exec_lo
	s_and_not1_saveexec_b32 s1, s1
	s_cbranch_execz .LBB1_12
.LBB1_15:                               ;   in Loop: Header=BB1_10 Depth=3
	v_sub_nc_u32_e32 v2, 0, v14
	s_or_b32 s0, s0, exec_lo
	s_delay_alu instid0(VALU_DEP_1) | instskip(NEXT) | instid1(VALU_DEP_1)
	v_max_i32_e32 v2, v14, v2
	v_mul_u64_e32 v[12:13], s[10:11], v[2:3]
	s_delay_alu instid0(VALU_DEP_1) | instskip(NEXT) | instid1(VALU_DEP_1)
	v_mul_lo_u32 v9, v13, s56
	v_dual_sub_nc_u32 v2, v2, v9 :: v_dual_ashrrev_i32 v9, 31, v14
	s_delay_alu instid0(VALU_DEP_1)
	v_subrev_nc_u32_e32 v12, s56, v2
	s_or_b32 exec_lo, exec_lo, s1
	v_mov_b32_e32 v14, 1
	s_and_saveexec_b32 s1, s0
	s_cbranch_execz .LBB1_13
.LBB1_16:                               ;   in Loop: Header=BB1_10 Depth=3
	v_mov_b32_e32 v14, 0
	s_or_b32 exec_lo, exec_lo, s1
	s_delay_alu instid0(SALU_CYCLE_1)
	s_and_not1_b32 vcc_lo, exec_lo, s54
	s_cbranch_vccnz .LBB1_9
.LBB1_17:                               ;   in Loop: Header=BB1_10 Depth=3
	v_cmp_le_u32_e32 vcc_lo, s56, v2
	v_add_nc_u32_e32 v15, 1, v13
	s_mov_b64 s[50:51], s[48:49]
	s_mov_b32 s58, s18
	v_dual_cndmask_b32 v2, v2, v12, vcc_lo :: v_dual_bitop2_b32 v9, s57, v9 bitop3:0x14
	s_delay_alu instid0(VALU_DEP_2) | instskip(NEXT) | instid1(VALU_DEP_2)
	v_cndmask_b32_e32 v13, v13, v15, vcc_lo
	v_cmp_le_u32_e32 vcc_lo, s56, v2
	s_delay_alu instid0(VALU_DEP_2) | instskip(NEXT) | instid1(VALU_DEP_1)
	v_add_nc_u32_e32 v12, 1, v13
	v_cndmask_b32_e32 v2, v13, v12, vcc_lo
	s_delay_alu instid0(VALU_DEP_1) | instskip(NEXT) | instid1(VALU_DEP_1)
	v_xor_b32_e32 v2, v2, v9
	v_sub_nc_u32_e32 v12, v2, v9
	s_delay_alu instid0(VALU_DEP_1) | instskip(SKIP_1) | instid1(VALU_DEP_2)
	v_ashrrev_i32_e32 v13, 31, v12
	v_cmp_gt_i32_e32 vcc_lo, s28, v12
	v_add_nc_u64_e32 v[16:17], s[46:47], v[12:13]
	v_cndmask_b32_e32 v9, 0, v14, vcc_lo
	s_delay_alu instid0(VALU_DEP_2) | instskip(NEXT) | instid1(VALU_DEP_1)
	v_mul_u64_e32 v[16:17], s[8:9], v[16:17]
	v_lshl_add_u64 v[12:13], v[16:17], 2, s[20:21]
	v_mov_b32_e32 v16, v7
	s_branch .LBB1_23
.LBB1_18:                               ;   in Loop: Header=BB1_23 Depth=4
	s_or_b32 exec_lo, exec_lo, s61
	v_lshlrev_b32_e32 v2, 24, v14
	s_delay_alu instid0(VALU_DEP_2) | instskip(SKIP_1) | instid1(VALU_DEP_3)
	v_lshlrev_b32_e32 v14, 20, v18
	v_lshl_add_u32 v15, v19, 23, 0x3c000000
	v_and_b32_e32 v2, 0x80000000, v2
	s_delay_alu instid0(VALU_DEP_1)
	v_or3_b32 v15, v2, v15, v14
.LBB1_19:                               ;   in Loop: Header=BB1_23 Depth=4
	s_or_b32 exec_lo, exec_lo, s60
.LBB1_20:                               ;   in Loop: Header=BB1_23 Depth=4
	s_delay_alu instid0(SALU_CYCLE_1)
	s_or_b32 exec_lo, exec_lo, s1
.LBB1_21:                               ;   in Loop: Header=BB1_23 Depth=4
	s_delay_alu instid0(SALU_CYCLE_1) | instskip(SKIP_2) | instid1(VALU_DEP_1)
	s_or_b32 exec_lo, exec_lo, s0
	v_cvt_f64_f32_e32 v[18:19], v17
	v_cvt_f64_f32_e32 v[14:15], v15
	v_fmac_f64_e32 v[10:11], v[18:19], v[14:15]
.LBB1_22:                               ;   in Loop: Header=BB1_23 Depth=4
	s_or_b32 exec_lo, exec_lo, s59
	v_subrev_nc_u32_e32 v16, s14, v16
	s_add_co_i32 s58, s58, -1
	s_add_nc_u64 s[50:51], s[50:51], 2
	s_cmp_eq_u32 s58, 0
	s_cbranch_scc1 .LBB1_9
.LBB1_23:                               ;   Parent Loop BB1_4 Depth=1
                                        ;     Parent Loop BB1_7 Depth=2
                                        ;       Parent Loop BB1_10 Depth=3
                                        ; =>      This Inner Loop Header: Depth=4
	s_delay_alu instid0(VALU_DEP_1) | instskip(SKIP_2) | instid1(VALU_DEP_1)
	v_dual_sub_nc_u32 v2, 0, v16 :: v_dual_ashrrev_i32 v17, 31, v16
	s_mov_b32 s0, 0
	s_mov_b32 s1, exec_lo
                                        ; implicit-def: $vgpr15
                                        ; implicit-def: $vgpr14
                                        ; implicit-def: $vgpr18
	v_max_i32_e32 v2, v16, v2
	v_cmpx_lt_i32_e32 -1, v16
	s_xor_b32 s1, exec_lo, s1
	s_cbranch_execnz .LBB1_66
; %bb.24:                               ;   in Loop: Header=BB1_23 Depth=4
	s_and_not1_saveexec_b32 s1, s1
	s_cbranch_execnz .LBB1_67
.LBB1_25:                               ;   in Loop: Header=BB1_23 Depth=4
	s_or_b32 exec_lo, exec_lo, s1
	v_mov_b32_e32 v2, 1
	s_and_saveexec_b32 s1, s0
.LBB1_26:                               ;   in Loop: Header=BB1_23 Depth=4
	v_mov_b32_e32 v2, 0
.LBB1_27:                               ;   in Loop: Header=BB1_23 Depth=4
	s_or_b32 exec_lo, exec_lo, s1
	v_cmp_le_u32_e32 vcc_lo, s17, v14
	v_add_nc_u32_e32 v19, 1, v15
	s_mov_b32 s59, exec_lo
	v_dual_cndmask_b32 v14, v14, v18, vcc_lo :: v_dual_bitop2_b32 v17, s12, v17 bitop3:0x14
	s_delay_alu instid0(VALU_DEP_2) | instskip(NEXT) | instid1(VALU_DEP_2)
	v_cndmask_b32_e32 v15, v15, v19, vcc_lo
	v_cmp_le_u32_e32 vcc_lo, s17, v14
	s_delay_alu instid0(VALU_DEP_2) | instskip(NEXT) | instid1(VALU_DEP_1)
	v_add_nc_u32_e32 v18, 1, v15
	v_cndmask_b32_e32 v14, v15, v18, vcc_lo
	s_delay_alu instid0(VALU_DEP_1) | instskip(NEXT) | instid1(VALU_DEP_1)
	v_xor_b32_e32 v14, v14, v17
	v_sub_nc_u32_e32 v14, v14, v17
	s_delay_alu instid0(VALU_DEP_1) | instskip(SKIP_1) | instid1(VALU_DEP_1)
	v_cmp_gt_i32_e32 vcc_lo, s8, v14
	v_cndmask_b32_e32 v2, 0, v2, vcc_lo
	v_and_b32_e32 v2, v2, v9
	s_delay_alu instid0(VALU_DEP_1) | instskip(NEXT) | instid1(VALU_DEP_1)
	v_and_b32_e32 v2, 1, v2
	v_cmpx_eq_u32_e32 1, v2
	s_cbranch_execz .LBB1_22
; %bb.28:                               ;   in Loop: Header=BB1_23 Depth=4
	v_dual_ashrrev_i32 v15, 31, v14 :: v_dual_mov_b32 v17, 0
	s_and_not1_b32 vcc_lo, exec_lo, s2
	s_delay_alu instid0(VALU_DEP_1)
	v_lshl_add_u64 v[14:15], v[14:15], 2, v[12:13]
	global_load_b32 v18, v[14:15], off
	s_wait_xcnt 0x0
	v_mov_b32_e32 v15, 0
	s_cbranch_vccnz .LBB1_30
; %bb.29:                               ;   in Loop: Header=BB1_23 Depth=4
	s_load_b32 s0, s[34:35], 0xc
	s_wait_loadcnt 0x0
	v_lshrrev_b32_e32 v2, 16, v18
	s_load_u16 s1, s[50:51], 0x0
	s_delay_alu instid0(VALU_DEP_1) | instskip(NEXT) | instid1(VALU_DEP_1)
	v_bitop3_b32 v2, v18, v2, 0xffff bitop3:0x6c
	v_dual_lshlrev_b32 v14, 11, v2 :: v_dual_lshrrev_b32 v2, 5, v2
	s_delay_alu instid0(VALU_DEP_1) | instskip(SKIP_2) | instid1(VALU_DEP_1)
	v_and_or_b32 v2, 0xf800, v14, v2
	s_wait_kmcnt 0x0
	s_and_b32 s0, s0, 0xffff
	v_mul_lo_u32 v2, 0x7000149, v2
	v_mad_u32 v15, s33, s0, v0
	s_lshr_b32 s0, s1, 5
	s_delay_alu instid0(SALU_CYCLE_1) | instskip(NEXT) | instid1(SALU_CYCLE_1)
	s_mul_i32 s0, s0, 0x7000149
	s_xor_b32 s0, s3, s0
	s_delay_alu instid0(VALU_DEP_2) | instskip(NEXT) | instid1(VALU_DEP_2)
	v_xor_b32_e32 v2, s3, v2
	v_mul_lo_u32 v14, 0x3819f, v15
	s_delay_alu instid0(VALU_DEP_1)
	v_xor3_b32 v17, v2, v14, 0x13371337
	v_xor3_b32 v15, 0x13371337, s0, v14
.LBB1_30:                               ;   in Loop: Header=BB1_23 Depth=4
	s_wait_loadcnt 0x0
	v_lshrrev_b32_e32 v2, 24, v18
	v_and_b32_e32 v20, 0x7f800000, v18
	v_and_b32_e32 v19, 0x7fffff, v18
	s_mov_b32 s0, exec_lo
	s_delay_alu instid0(VALU_DEP_3) | instskip(NEXT) | instid1(VALU_DEP_3)
	v_and_b32_e32 v14, 0x80, v2
                                        ; implicit-def: $vgpr2
	v_cmpx_ne_u32_e32 0x7f800000, v20
	s_xor_b32 s60, exec_lo, s0
	s_cbranch_execz .LBB1_38
; %bb.31:                               ;   in Loop: Header=BB1_23 Depth=4
	v_mov_b32_e32 v2, 0
	s_mov_b32 s61, exec_lo
	v_cmpx_ne_u32_e32 0, v18
	s_cbranch_execz .LBB1_37
; %bb.32:                               ;   in Loop: Header=BB1_23 Depth=4
	v_bfe_u32 v2, v18, 23, 8
	v_or_b32_e32 v20, 0x800000, v19
	s_delay_alu instid0(VALU_DEP_2) | instskip(SKIP_1) | instid1(VALU_DEP_2)
	v_sub_nc_u32_e32 v18, 0x79, v2
	v_cmp_gt_u32_e32 vcc_lo, 0x7a, v2
	v_cndmask_b32_e32 v18, 0, v18, vcc_lo
	v_cmp_eq_u32_e32 vcc_lo, 0, v2
	v_add_nc_u32_e32 v2, 0xffffff88, v2
	s_delay_alu instid0(VALU_DEP_3) | instskip(SKIP_1) | instid1(VALU_DEP_3)
	v_cndmask_b32_e64 v18, v18, 0x78, vcc_lo
	v_cndmask_b32_e32 v19, v20, v19, vcc_lo
	v_cndmask_b32_e64 v2, v2, 0xffffff89, vcc_lo
	s_delay_alu instid0(VALU_DEP_3) | instskip(NEXT) | instid1(VALU_DEP_3)
	v_lshl_add_u32 v20, 0x100000, v18, -1
	v_lshrrev_b32_e32 v21, v18, v19
	v_lshlrev_b32_e64 v22, v18, 0x80000
	v_cmp_lt_u32_e64 s0, 3, v18
	s_delay_alu instid0(VALU_DEP_4) | instskip(NEXT) | instid1(VALU_DEP_4)
	v_dual_add_nc_u32 v18, v18, v2 :: v_dual_bitop2_b32 v19, v20, v19 bitop3:0x40
	v_bfe_u32 v20, v21, 20, 1
	v_cndmask_b32_e64 v17, v21, v17, s2
	s_or_b32 s0, s2, s0
	s_delay_alu instid0(VALU_DEP_3) | instskip(NEXT) | instid1(VALU_DEP_3)
	v_cmp_ne_u32_e64 s1, v19, v22
	v_add3_u32 v19, v21, v20, -1
	s_or_b32 vcc_lo, s0, s1
	s_mov_b32 s0, exec_lo
	s_delay_alu instid0(VALU_DEP_1) | instskip(NEXT) | instid1(VALU_DEP_1)
	v_cndmask_b32_e32 v17, v19, v17, vcc_lo
	v_and_b32_e32 v2, 0xfffff, v17
	v_lshrrev_b32_e32 v19, 23, v21
                                        ; implicit-def: $vgpr17
	s_delay_alu instid0(VALU_DEP_1) | instskip(NEXT) | instid1(VALU_DEP_1)
	v_dual_add_nc_u32 v2, v2, v21 :: v_dual_bitop2_b32 v19, 1, v19 bitop3:0x14
	v_cmpx_ne_u32_e64 v18, v19
	s_xor_b32 s0, exec_lo, s0
; %bb.33:                               ;   in Loop: Header=BB1_23 Depth=4
	s_delay_alu instid0(VALU_DEP_2) | instskip(SKIP_2) | instid1(VALU_DEP_1)
	v_cmp_lt_u32_e32 vcc_lo, 0xffffff, v2
	v_sub_nc_u32_e32 v17, v18, v19
	v_cndmask_b32_e64 v18, 0, 1, vcc_lo
	v_lshrrev_b32_e32 v2, v18, v2
	s_delay_alu instid0(VALU_DEP_3)
	v_add_co_ci_u32_e64 v17, null, 0, v17, vcc_lo
; %bb.34:                               ;   in Loop: Header=BB1_23 Depth=4
	s_and_not1_saveexec_b32 s0, s0
; %bb.35:                               ;   in Loop: Header=BB1_23 Depth=4
	s_delay_alu instid0(VALU_DEP_2)
	v_bfe_u32 v17, v2, 23, 1
; %bb.36:                               ;   in Loop: Header=BB1_23 Depth=4
	s_or_b32 exec_lo, exec_lo, s0
	s_delay_alu instid0(VALU_DEP_1) | instskip(SKIP_1) | instid1(VALU_DEP_2)
	v_dual_lshrrev_b32 v2, 20, v2 :: v_dual_min_i32 v18, 14, v17
	v_cmp_gt_i32_e32 vcc_lo, 15, v17
	v_lshlrev_b32_e32 v18, 3, v18
	s_delay_alu instid0(VALU_DEP_3) | instskip(NEXT) | instid1(VALU_DEP_1)
	v_cndmask_b32_e32 v2, 7, v2, vcc_lo
	v_or_b32_e32 v17, v17, v2
	s_delay_alu instid0(VALU_DEP_3) | instskip(NEXT) | instid1(VALU_DEP_2)
	v_and_or_b32 v2, v2, 7, v18
	v_cmp_ne_u32_e32 vcc_lo, 0, v17
	s_delay_alu instid0(VALU_DEP_2) | instskip(NEXT) | instid1(VALU_DEP_1)
	v_cndmask_b32_e32 v2, 0, v2, vcc_lo
	v_or_b32_e32 v2, v2, v14
.LBB1_37:                               ;   in Loop: Header=BB1_23 Depth=4
	s_or_b32 exec_lo, exec_lo, s61
                                        ; implicit-def: $vgpr19
                                        ; implicit-def: $vgpr14
.LBB1_38:                               ;   in Loop: Header=BB1_23 Depth=4
	s_and_not1_saveexec_b32 s0, s60
; %bb.39:                               ;   in Loop: Header=BB1_23 Depth=4
	v_cmp_ne_u32_e32 vcc_lo, 0, v19
	v_cndmask_b32_e64 v2, 0, 1, vcc_lo
	s_delay_alu instid0(VALU_DEP_1) | instskip(NEXT) | instid1(VALU_DEP_1)
	v_or_b32_e32 v2, v14, v2
	v_or_b32_e32 v2, 0x78, v2
; %bb.40:                               ;   in Loop: Header=BB1_23 Depth=4
	s_or_b32 exec_lo, exec_lo, s0
	global_load_u16 v17, v3, s[50:51]
                                        ; implicit-def: $vgpr14
	s_wait_loadcnt 0x0
	v_readfirstlane_b32 s0, v17
	s_and_b32 s60, 0xffff, s0
	s_delay_alu instid0(SALU_CYCLE_1)
	s_lshr_b32 s1, s60, 8
	s_and_b32 s61, s60, 0x7c00
	s_and_b32 s0, s60, 0x3ff
	;; [unrolled: 1-line block ×3, first 2 shown]
	s_cmp_lg_u32 s61, 0x7c00
	s_mov_b32 s61, -1
	s_cbranch_scc0 .LBB1_47
; %bb.41:                               ;   in Loop: Header=BB1_23 Depth=4
	v_and_b32_e32 v14, 0xffff, v17
	s_delay_alu instid0(VALU_DEP_1)
	v_cmp_eq_u32_e32 vcc_lo, 0, v14
	s_cbranch_vccnz .LBB1_68
; %bb.42:                               ;   in Loop: Header=BB1_23 Depth=4
	s_bfe_u32 s60, s60, 0x5000a
                                        ; implicit-def: $vgpr17
	s_delay_alu instid0(SALU_CYCLE_1)
	s_sub_co_i32 s61, 9, s60
	s_cmp_lt_u32 s60, 10
	s_cselect_b32 s61, s61, 0
	s_or_b32 s62, s0, 0x400
	s_add_co_i32 s63, s60, -8
	s_cmp_eq_u32 s60, 0
	s_cselect_b32 s61, 8, s61
	s_cselect_b32 s60, s0, s62
	s_cselect_b32 s62, -7, s63
	s_cmp_gt_u32 s61, 3
	s_cselect_b32 s63, -1, 0
	s_lshl_b32 s64, 0x80, s61
	s_lshl_b32 s65, 64, s61
	s_add_co_i32 s64, s64, -1
	s_delay_alu instid0(SALU_CYCLE_1) | instskip(NEXT) | instid1(SALU_CYCLE_1)
	s_and_b32 s64, s64, s60
	s_cmp_lg_u32 s64, s65
	s_cselect_b32 s64, -1, 0
	s_lshr_b32 s60, s60, s61
	s_or_b32 s63, s2, s63
	s_bfe_u32 s65, s60, 0x10007
	v_cndmask_b32_e64 v14, s60, v15, s2
	s_add_co_i32 s65, s60, s65
	s_or_b32 vcc_lo, s63, s64
	s_add_co_i32 s65, s65, -1
	s_lshr_b32 s63, s60, 10
	v_cndmask_b32_e32 v14, s65, v14, vcc_lo
	s_add_co_i32 s61, s61, s62
	s_xor_b32 s62, s63, 1
                                        ; implicit-def: $vgpr15
	s_delay_alu instid0(SALU_CYCLE_1) | instskip(NEXT) | instid1(VALU_DEP_1)
	s_cmp_lg_u32 s61, s62
	v_and_b32_e32 v14, 0x7f, v14
	s_delay_alu instid0(VALU_DEP_1)
	v_add_nc_u32_e32 v14, s60, v14
	s_mov_b32 s60, -1
	s_cbranch_scc0 .LBB1_44
; %bb.43:                               ;   in Loop: Header=BB1_23 Depth=4
	s_delay_alu instid0(VALU_DEP_1)
	v_cmp_lt_u32_e32 vcc_lo, 0x7ff, v14
	s_sub_co_i32 s60, s61, s62
	v_cndmask_b32_e64 v17, 0, 1, vcc_lo
	v_add_co_ci_u32_e64 v15, null, s60, 0, vcc_lo
	s_mov_b32 s60, 0
	v_lshrrev_b32_e32 v17, v17, v14
.LBB1_44:                               ;   in Loop: Header=BB1_23 Depth=4
	s_and_not1_b32 vcc_lo, exec_lo, s60
	s_cbranch_vccnz .LBB1_46
; %bb.45:                               ;   in Loop: Header=BB1_23 Depth=4
	v_bfe_u32 v15, v14, 10, 1
	v_mov_b32_e32 v17, v14
.LBB1_46:                               ;   in Loop: Header=BB1_23 Depth=4
	s_delay_alu instid0(VALU_DEP_1) | instskip(SKIP_2) | instid1(VALU_DEP_2)
	v_dual_lshrrev_b32 v14, 7, v17 :: v_dual_min_i32 v17, 14, v15
	v_cmp_gt_i32_e32 vcc_lo, 15, v15
	s_mov_b32 s61, 0
	v_dual_cndmask_b32 v14, 7, v14 :: v_dual_lshlrev_b32 v17, 3, v17
	s_delay_alu instid0(VALU_DEP_1) | instskip(NEXT) | instid1(VALU_DEP_2)
	v_or_b32_e32 v15, v15, v14
	v_and_or_b32 v14, v14, 7, v17
	s_delay_alu instid0(VALU_DEP_2) | instskip(NEXT) | instid1(VALU_DEP_2)
	v_cmp_ne_u32_e32 vcc_lo, 0, v15
	v_cndmask_b32_e32 v14, 0, v14, vcc_lo
	s_delay_alu instid0(VALU_DEP_1)
	v_or_b32_e32 v14, s1, v14
.LBB1_47:                               ;   in Loop: Header=BB1_23 Depth=4
	s_and_not1_b32 vcc_lo, exec_lo, s61
	s_cbranch_vccnz .LBB1_49
.LBB1_48:                               ;   in Loop: Header=BB1_23 Depth=4
	s_cmp_lg_u32 s0, 0
	s_cselect_b32 s0, -1, 0
	s_delay_alu instid0(SALU_CYCLE_1) | instskip(NEXT) | instid1(VALU_DEP_1)
	v_cndmask_b32_e64 v14, 0, 1, s0
	v_or_b32_e32 v14, s1, v14
	s_delay_alu instid0(VALU_DEP_1)
	v_or_b32_e32 v14, 0x78, v14
.LBB1_49:                               ;   in Loop: Header=BB1_23 Depth=4
	v_and_b32_e32 v18, 0xff, v2
	v_dual_mov_b32 v15, 0 :: v_dual_mov_b32 v17, 0
	s_mov_b32 s0, exec_lo
	s_wait_xcnt 0x0
	s_delay_alu instid0(VALU_DEP_2)
	v_cmpx_ne_u16_e32 0, v18
	s_cbranch_execz .LBB1_59
; %bb.50:                               ;   in Loop: Header=BB1_23 Depth=4
	v_bfrev_b32_e32 v17, 1
	s_mov_b32 s1, exec_lo
	v_cmpx_ne_u16_e32 0x80, v18
	s_cbranch_execz .LBB1_58
; %bb.51:                               ;   in Loop: Header=BB1_23 Depth=4
	v_lshrrev_b16 v17, 3, v2
	v_and_b32_e32 v19, 7, v2
	s_mov_b32 s60, exec_lo
	s_delay_alu instid0(VALU_DEP_2) | instskip(NEXT) | instid1(VALU_DEP_1)
	v_and_b32_e32 v20, 15, v17
                                        ; implicit-def: $vgpr17
	v_cmpx_lt_i32_e32 14, v20
	s_xor_b32 s60, exec_lo, s60
; %bb.52:                               ;   in Loop: Header=BB1_23 Depth=4
	v_bfe_i32 v2, v2, 0, 8
                                        ; implicit-def: $vgpr20
                                        ; implicit-def: $vgpr18
	s_delay_alu instid0(VALU_DEP_1) | instskip(SKIP_2) | instid1(VALU_DEP_2)
	v_cmp_lt_i16_e32 vcc_lo, -1, v2
	v_cndmask_b32_e32 v2, 0xff800000, v1, vcc_lo
	v_cmp_eq_u32_e32 vcc_lo, 0, v19
                                        ; implicit-def: $vgpr19
	v_cndmask_b32_e32 v17, 0x7f800001, v2, vcc_lo
                                        ; implicit-def: $vgpr2
; %bb.53:                               ;   in Loop: Header=BB1_23 Depth=4
	s_and_not1_saveexec_b32 s60, s60
	s_cbranch_execz .LBB1_57
; %bb.54:                               ;   in Loop: Header=BB1_23 Depth=4
	s_mov_b32 s61, exec_lo
	v_cmpx_eq_u32_e32 0, v20
; %bb.55:                               ;   in Loop: Header=BB1_23 Depth=4
	v_clz_i32_u32_e32 v17, v19
	s_delay_alu instid0(VALU_DEP_1) | instskip(NEXT) | instid1(VALU_DEP_1)
	v_subrev_nc_u32_e32 v19, 28, v17
	v_dual_sub_nc_u32 v20, 29, v17 :: v_dual_lshlrev_b32 v18, v19, v18
	s_delay_alu instid0(VALU_DEP_1)
	v_and_b32_e32 v19, 7, v18
; %bb.56:                               ;   in Loop: Header=BB1_23 Depth=4
	s_or_b32 exec_lo, exec_lo, s61
	s_delay_alu instid0(VALU_DEP_1) | instskip(NEXT) | instid1(VALU_DEP_3)
	v_dual_lshlrev_b32 v2, 24, v2 :: v_dual_lshlrev_b32 v17, 20, v19
	v_lshl_add_u32 v18, v20, 23, 0x3c000000
	s_delay_alu instid0(VALU_DEP_2) | instskip(NEXT) | instid1(VALU_DEP_1)
	v_and_b32_e32 v2, 0x80000000, v2
	v_or3_b32 v17, v2, v18, v17
.LBB1_57:                               ;   in Loop: Header=BB1_23 Depth=4
	s_or_b32 exec_lo, exec_lo, s60
.LBB1_58:                               ;   in Loop: Header=BB1_23 Depth=4
	s_delay_alu instid0(SALU_CYCLE_1)
	s_or_b32 exec_lo, exec_lo, s1
.LBB1_59:                               ;   in Loop: Header=BB1_23 Depth=4
	s_delay_alu instid0(SALU_CYCLE_1) | instskip(SKIP_2) | instid1(VALU_DEP_1)
	s_or_b32 exec_lo, exec_lo, s0
	v_and_b32_e32 v2, 0xff, v14
	s_mov_b32 s0, exec_lo
	v_cmpx_ne_u16_e32 0, v2
	s_cbranch_execz .LBB1_21
; %bb.60:                               ;   in Loop: Header=BB1_23 Depth=4
	v_bfrev_b32_e32 v15, 1
	s_mov_b32 s1, exec_lo
	v_cmpx_ne_u16_e32 0x80, v2
	s_cbranch_execz .LBB1_20
; %bb.61:                               ;   in Loop: Header=BB1_23 Depth=4
	v_lshrrev_b16 v15, 3, v14
	v_and_b32_e32 v18, 7, v14
	s_mov_b32 s60, exec_lo
	s_delay_alu instid0(VALU_DEP_2) | instskip(NEXT) | instid1(VALU_DEP_1)
	v_and_b32_e32 v19, 15, v15
                                        ; implicit-def: $vgpr15
	v_cmpx_lt_i32_e32 14, v19
	s_xor_b32 s60, exec_lo, s60
; %bb.62:                               ;   in Loop: Header=BB1_23 Depth=4
	v_bfe_i32 v2, v14, 0, 8
                                        ; implicit-def: $vgpr19
                                        ; implicit-def: $vgpr14
	s_delay_alu instid0(VALU_DEP_1) | instskip(SKIP_2) | instid1(VALU_DEP_2)
	v_cmp_lt_i16_e32 vcc_lo, -1, v2
	v_cndmask_b32_e32 v2, 0xff800000, v1, vcc_lo
	v_cmp_eq_u32_e32 vcc_lo, 0, v18
                                        ; implicit-def: $vgpr18
	v_cndmask_b32_e32 v15, 0x7f800001, v2, vcc_lo
                                        ; implicit-def: $vgpr2
; %bb.63:                               ;   in Loop: Header=BB1_23 Depth=4
	s_and_not1_saveexec_b32 s60, s60
	s_cbranch_execz .LBB1_19
; %bb.64:                               ;   in Loop: Header=BB1_23 Depth=4
	s_mov_b32 s61, exec_lo
	v_cmpx_eq_u32_e32 0, v19
	s_cbranch_execz .LBB1_18
; %bb.65:                               ;   in Loop: Header=BB1_23 Depth=4
	v_clz_i32_u32_e32 v15, v18
	s_delay_alu instid0(VALU_DEP_1) | instskip(NEXT) | instid1(VALU_DEP_1)
	v_subrev_nc_u32_e32 v18, 28, v15
	v_dual_sub_nc_u32 v19, 29, v15 :: v_dual_lshlrev_b32 v2, v18, v2
	s_delay_alu instid0(VALU_DEP_1)
	v_and_b32_e32 v18, 7, v2
	s_branch .LBB1_18
.LBB1_66:                               ;   in Loop: Header=BB1_23 Depth=4
	s_delay_alu instid0(VALU_DEP_2) | instskip(SKIP_1) | instid1(VALU_DEP_2)
	v_mul_u64_e32 v[14:15], s[38:39], v[2:3]
	v_ashrrev_i32_e32 v17, 31, v16
	v_mul_lo_u32 v14, v15, s17
	s_delay_alu instid0(VALU_DEP_1) | instskip(NEXT) | instid1(VALU_DEP_1)
	v_sub_nc_u32_e32 v14, v2, v14
	v_subrev_nc_u32_e32 v18, s17, v14
	v_cmp_le_u32_e32 vcc_lo, s17, v14
	s_delay_alu instid0(VALU_DEP_2) | instskip(NEXT) | instid1(VALU_DEP_1)
	v_cndmask_b32_e32 v2, v14, v18, vcc_lo
	v_subrev_nc_u32_e32 v19, s17, v2
	v_cmp_le_u32_e32 vcc_lo, s17, v2
	s_delay_alu instid0(VALU_DEP_2) | instskip(NEXT) | instid1(VALU_DEP_1)
	v_cndmask_b32_e32 v2, v2, v19, vcc_lo
	v_xor_b32_e32 v2, v2, v17
	s_delay_alu instid0(VALU_DEP_1) | instskip(NEXT) | instid1(VALU_DEP_1)
	v_sub_nc_u32_e32 v2, v2, v17
	v_cmp_ne_u32_e32 vcc_lo, 0, v2
	s_and_b32 s0, vcc_lo, exec_lo
	s_and_not1_saveexec_b32 s1, s1
	s_cbranch_execz .LBB1_25
.LBB1_67:                               ;   in Loop: Header=BB1_23 Depth=4
	v_mul_u64_e32 v[14:15], s[38:39], v[2:3]
	s_or_b32 s0, s0, exec_lo
	s_delay_alu instid0(VALU_DEP_1) | instskip(NEXT) | instid1(VALU_DEP_1)
	v_mul_lo_u32 v14, v15, s17
	v_sub_nc_u32_e32 v14, v2, v14
	s_delay_alu instid0(VALU_DEP_1)
	v_subrev_nc_u32_e32 v18, s17, v14
	s_or_b32 exec_lo, exec_lo, s1
	v_mov_b32_e32 v2, 1
	s_and_saveexec_b32 s1, s0
	s_cbranch_execnz .LBB1_26
	s_branch .LBB1_27
.LBB1_68:                               ;   in Loop: Header=BB1_23 Depth=4
	v_mov_b32_e32 v14, 0
	s_cbranch_execz .LBB1_48
	s_branch .LBB1_49
.LBB1_69:
	s_endpgm
	.section	.rodata,"a",@progbits
	.p2align	6, 0x0
	.amdhsa_kernel naive_conv_nonpacked_bwd_nchw_float_half_float
		.amdhsa_group_segment_fixed_size 0
		.amdhsa_private_segment_fixed_size 0
		.amdhsa_kernarg_size 352
		.amdhsa_user_sgpr_count 2
		.amdhsa_user_sgpr_dispatch_ptr 0
		.amdhsa_user_sgpr_queue_ptr 0
		.amdhsa_user_sgpr_kernarg_segment_ptr 1
		.amdhsa_user_sgpr_dispatch_id 0
		.amdhsa_user_sgpr_kernarg_preload_length 0
		.amdhsa_user_sgpr_kernarg_preload_offset 0
		.amdhsa_user_sgpr_private_segment_size 0
		.amdhsa_wavefront_size32 1
		.amdhsa_uses_dynamic_stack 0
		.amdhsa_enable_private_segment 0
		.amdhsa_system_sgpr_workgroup_id_x 1
		.amdhsa_system_sgpr_workgroup_id_y 0
		.amdhsa_system_sgpr_workgroup_id_z 0
		.amdhsa_system_sgpr_workgroup_info 0
		.amdhsa_system_vgpr_workitem_id 0
		.amdhsa_next_free_vgpr 23
		.amdhsa_next_free_sgpr 66
		.amdhsa_named_barrier_count 0
		.amdhsa_reserve_vcc 1
		.amdhsa_float_round_mode_32 0
		.amdhsa_float_round_mode_16_64 0
		.amdhsa_float_denorm_mode_32 3
		.amdhsa_float_denorm_mode_16_64 3
		.amdhsa_fp16_overflow 0
		.amdhsa_memory_ordered 1
		.amdhsa_forward_progress 1
		.amdhsa_inst_pref_size 28
		.amdhsa_round_robin_scheduling 0
		.amdhsa_exception_fp_ieee_invalid_op 0
		.amdhsa_exception_fp_denorm_src 0
		.amdhsa_exception_fp_ieee_div_zero 0
		.amdhsa_exception_fp_ieee_overflow 0
		.amdhsa_exception_fp_ieee_underflow 0
		.amdhsa_exception_fp_ieee_inexact 0
		.amdhsa_exception_int_div_zero 0
	.end_amdhsa_kernel
	.text
.Lfunc_end1:
	.size	naive_conv_nonpacked_bwd_nchw_float_half_float, .Lfunc_end1-naive_conv_nonpacked_bwd_nchw_float_half_float
                                        ; -- End function
	.set naive_conv_nonpacked_bwd_nchw_float_half_float.num_vgpr, 23
	.set naive_conv_nonpacked_bwd_nchw_float_half_float.num_agpr, 0
	.set naive_conv_nonpacked_bwd_nchw_float_half_float.numbered_sgpr, 66
	.set naive_conv_nonpacked_bwd_nchw_float_half_float.num_named_barrier, 0
	.set naive_conv_nonpacked_bwd_nchw_float_half_float.private_seg_size, 0
	.set naive_conv_nonpacked_bwd_nchw_float_half_float.uses_vcc, 1
	.set naive_conv_nonpacked_bwd_nchw_float_half_float.uses_flat_scratch, 0
	.set naive_conv_nonpacked_bwd_nchw_float_half_float.has_dyn_sized_stack, 0
	.set naive_conv_nonpacked_bwd_nchw_float_half_float.has_recursion, 0
	.set naive_conv_nonpacked_bwd_nchw_float_half_float.has_indirect_call, 0
	.section	.AMDGPU.csdata,"",@progbits
; Kernel info:
; codeLenInByte = 3536
; TotalNumSgprs: 68
; NumVgprs: 23
; ScratchSize: 0
; MemoryBound: 0
; FloatMode: 240
; IeeeMode: 1
; LDSByteSize: 0 bytes/workgroup (compile time only)
; SGPRBlocks: 0
; VGPRBlocks: 1
; NumSGPRsForWavesPerEU: 68
; NumVGPRsForWavesPerEU: 23
; NamedBarCnt: 0
; Occupancy: 16
; WaveLimiterHint : 0
; COMPUTE_PGM_RSRC2:SCRATCH_EN: 0
; COMPUTE_PGM_RSRC2:USER_SGPR: 2
; COMPUTE_PGM_RSRC2:TRAP_HANDLER: 0
; COMPUTE_PGM_RSRC2:TGID_X_EN: 1
; COMPUTE_PGM_RSRC2:TGID_Y_EN: 0
; COMPUTE_PGM_RSRC2:TGID_Z_EN: 0
; COMPUTE_PGM_RSRC2:TIDIG_COMP_CNT: 0
	.text
	.protected	naive_conv_nonpacked_wrw_nchw_float_half_float ; -- Begin function naive_conv_nonpacked_wrw_nchw_float_half_float
	.globl	naive_conv_nonpacked_wrw_nchw_float_half_float
	.p2align	8
	.type	naive_conv_nonpacked_wrw_nchw_float_half_float,@function
naive_conv_nonpacked_wrw_nchw_float_half_float: ; @naive_conv_nonpacked_wrw_nchw_float_half_float
; %bb.0:
	s_load_b512 s[4:19], s[0:1], 0x18
	s_bfe_u32 s2, ttmp6, 0x4000c
	s_and_b32 s3, ttmp6, 15
	s_add_co_i32 s2, s2, 1
	s_getreg_b32 s20, hwreg(HW_REG_IB_STS2, 6, 4)
	s_mul_i32 s2, ttmp9, s2
	s_mov_b32 s25, 0
	s_add_co_i32 s3, s3, s2
	s_cmp_eq_u32 s20, 0
	s_cselect_b32 s33, ttmp9, s3
	s_wait_kmcnt 0x0
	s_abs_i32 s27, s7
	s_mul_i32 s36, s18, s17
	s_cvt_f32_u32 s2, s27
	s_mul_i32 s48, s36, s8
	s_delay_alu instid0(SALU_CYCLE_2) | instskip(SKIP_2) | instid1(TRANS32_DEP_1)
	v_rcp_iflag_f32_e32 v1, s2
	s_mov_b32 s2, exec_lo
	v_nop
	v_readfirstlane_b32 s20, v1
	v_cmpx_gt_i32_e64 s48, v0
	s_cbranch_execz .LBB2_59
; %bb.1:
	s_load_b64 s[2:3], s[0:1], 0x58
	s_mul_f32 s24, s20, 0x4f7ffffe
	s_sub_co_i32 s28, 0, s27
	s_mov_b32 s29, s25
	s_ashr_i32 s30, s33, 31
	s_cvt_u32_f32 s26, s24
	s_abs_i32 s24, s33
	s_ashr_i32 s31, s7, 31
	s_mov_b32 s34, s8
	s_mul_i32 s28, s28, s26
	s_clause 0x1
	s_load_b128 s[20:23], s[0:1], 0x0
	s_load_b64 s[46:47], s[0:1], 0x10
	s_mul_hi_u32 s28, s26, s28
	s_mul_i32 s54, s19, s8
	s_add_co_i32 s28, s26, s28
	s_mov_b32 s26, s4
	s_mul_u64 s[28:29], s[24:25], s[28:29]
	v_dual_mov_b32 v3, 0 :: v_dual_mov_b32 v18, 0x7e00
	s_mul_i32 s28, s29, s27
	s_wait_kmcnt 0x0
	s_bitcmp1_b32 s2, 0
	s_mov_b32 s58, s25
	s_cselect_b32 s2, -1, 0
	s_sub_co_i32 s24, s24, s28
	s_xor_b32 s37, s30, s31
	s_add_co_i32 s30, s29, 1
	s_sub_co_i32 s35, s24, s27
	s_cmp_ge_u32 s24, s27
	s_mov_b32 s28, s5
	s_cselect_b32 s29, s30, s29
	s_cselect_b32 s24, s35, s24
	s_add_co_i32 s35, s29, 1
	s_cmp_ge_u32 s24, s27
	s_mov_b32 s30, s7
	s_cselect_b32 s24, s35, s29
	s_ashr_i32 s27, s4, 31
	s_ashr_i32 s29, s5, 31
	s_xor_b32 s24, s24, s37
	s_ashr_i32 s35, s8, 31
	s_mul_u64 s[4:5], s[28:29], s[26:27]
	s_sub_co_i32 s38, s24, s37
	s_mul_u64 s[40:41], s[4:5], s[34:35]
	s_mul_i32 s4, s38, s7
	s_ashr_i32 s39, s38, 31
	s_sub_co_i32 s42, s33, s4
	s_ashr_i32 s5, s17, 31
	s_mov_b32 s4, s17
	s_mul_u64 s[44:45], s[38:39], s[30:31]
	s_ashr_i32 s31, s18, 31
	s_mov_b32 s30, s18
	s_ashr_i32 s43, s42, 31
	s_mul_u64 s[34:35], s[4:5], s[34:35]
	s_add_nc_u64 s[42:43], s[44:45], s[42:43]
	s_mul_u64 s[34:35], s[34:35], s[30:31]
	s_mul_u64 s[38:39], s[40:41], s[38:39]
	s_mul_u64 s[34:35], s[34:35], s[42:43]
	s_lshl_b64 s[38:39], s[38:39], 2
	s_lshl_b64 s[40:41], s[34:35], 1
	s_ashr_i32 s35, s9, 31
	s_ashr_i32 s45, s10, 31
	s_cmp_lt_i32 s6, 1
	s_mov_b32 s34, s9
	s_cselect_b32 s49, -1, 0
	s_cmp_gt_i32 s9, 0
	s_add_nc_u64 s[20:21], s[20:21], s[38:39]
	s_cselect_b32 s50, -1, 0
	s_cmp_gt_i32 s10, 0
	s_mul_i32 s38, s19, s7
	s_cselect_b32 s51, -1, 0
	s_abs_i32 s52, s18
	s_abs_i32 s53, s17
	s_cvt_f32_u32 s18, s52
	s_cvt_f32_u32 s17, s53
	s_abs_i32 s55, s36
	s_sub_co_i32 s19, 0, s53
	v_rcp_iflag_f32_e32 v1, s18
	v_rcp_iflag_f32_e32 v2, s17
	s_cvt_f32_u32 s9, s55
	s_mov_b32 s44, s10
	s_ashr_i32 s57, s36, 31
	s_add_nc_u64 s[22:23], s[22:23], s[40:41]
	s_ashr_i32 s39, s38, 31
	v_readfirstlane_b32 s8, v1
	v_rcp_iflag_f32_e32 v1, s9
	v_readfirstlane_b32 s18, v2
	v_mov_b32_e32 v4, v0
	s_ashr_i32 s7, s54, 31
	s_mul_f32 s17, s8, 0x4f7ffffe
	s_add_nc_u64 s[8:9], s[0:1], 0x60
	s_mul_f32 s1, s18, 0x4f7ffffe
	v_readfirstlane_b32 s18, v1
	s_cvt_u32_f32 s0, s17
	s_sub_co_i32 s17, 0, s52
	s_cvt_u32_f32 s1, s1
	v_mov_b32_e32 v1, 0x7f800000
	s_mul_i32 s17, s17, s0
	s_mul_f32 s18, s18, 0x4f7ffffe
	s_mul_hi_u32 s17, s0, s17
	s_mul_i32 s19, s19, s1
	s_add_co_i32 s24, s0, s17
	s_mul_hi_u32 s0, s1, s19
	s_cvt_u32_f32 s17, s18
	s_add_co_i32 s18, s1, s0
	s_sub_co_i32 s0, 0, s55
	s_xor_b32 s56, s3, 0x13371337
	s_mul_i32 s0, s0, s17
	s_mov_b32 s19, s25
	s_mul_hi_u32 s36, s17, s0
	s_mul_u64 s[0:1], s[44:45], s[34:35]
	s_add_co_i32 s36, s17, s36
	s_mul_u64 s[40:41], s[0:1], s[42:43]
	s_mul_u64 s[0:1], s[0:1], s[38:39]
	s_lshl_b64 s[40:41], s[40:41], 2
	s_mov_b32 s37, s25
	s_add_nc_u64 s[38:39], s[46:47], s[40:41]
	s_lshl_b64 s[40:41], s[0:1], 2
	s_lshl_b64 s[42:43], s[44:45], 2
	s_sub_co_i32 s35, 0, s16
	s_branch .LBB2_4
.LBB2_2:                                ;   in Loop: Header=BB2_4 Depth=1
	s_delay_alu instid0(VALU_DEP_1) | instskip(SKIP_2) | instid1(VALU_DEP_3)
	v_and_or_b32 v2, 0x1ff, v13, v12
	v_lshrrev_b32_e32 v5, 8, v13
	v_bfe_u32 v9, v13, 20, 11
	v_cmp_ne_u32_e32 vcc_lo, 0, v2
	s_delay_alu instid0(VALU_DEP_2) | instskip(SKIP_2) | instid1(VALU_DEP_1)
	v_sub_nc_u32_e32 v11, 0x3f1, v9
	v_add_nc_u32_e32 v9, 0xfffffc10, v9
	v_cndmask_b32_e64 v2, 0, 1, vcc_lo
	v_and_or_b32 v2, 0xffe, v5, v2
	s_delay_alu instid0(VALU_DEP_4) | instskip(NEXT) | instid1(VALU_DEP_2)
	v_med3_i32 v5, v11, 0, 13
	v_or_b32_e32 v11, 0x1000, v2
	s_delay_alu instid0(VALU_DEP_1) | instskip(NEXT) | instid1(VALU_DEP_1)
	v_lshrrev_b32_e32 v12, v5, v11
	v_lshlrev_b32_e32 v5, v5, v12
	s_delay_alu instid0(VALU_DEP_1) | instskip(SKIP_3) | instid1(VALU_DEP_2)
	v_cmp_ne_u32_e32 vcc_lo, v5, v11
	v_lshl_or_b32 v11, v9, 12, v2
	v_cndmask_b32_e64 v5, 0, 1, vcc_lo
	v_cmp_gt_i32_e32 vcc_lo, 1, v9
	v_or_b32_e32 v5, v12, v5
	s_delay_alu instid0(VALU_DEP_1) | instskip(NEXT) | instid1(VALU_DEP_1)
	v_cndmask_b32_e32 v5, v11, v5, vcc_lo
	v_dual_lshrrev_b32 v5, 2, v5 :: v_dual_bitop2_b32 v11, 7, v5 bitop3:0x40
	s_delay_alu instid0(VALU_DEP_1) | instskip(SKIP_4) | instid1(VALU_DEP_2)
	v_cmp_lt_i32_e32 vcc_lo, 5, v11
	v_cndmask_b32_e64 v12, 0, 1, vcc_lo
	v_cmp_eq_u32_e32 vcc_lo, 3, v11
	v_cndmask_b32_e64 v11, 0, 1, vcc_lo
	v_cmp_ne_u32_e32 vcc_lo, 0, v2
	v_or_b32_e32 v11, v11, v12
	v_cndmask_b32_e32 v2, 0x7c00, v18, vcc_lo
	v_cmp_gt_i32_e32 vcc_lo, 31, v9
	s_delay_alu instid0(VALU_DEP_3) | instskip(NEXT) | instid1(VALU_DEP_1)
	v_add_nc_u32_e32 v5, v5, v11
	v_cndmask_b32_e32 v5, 0x7c00, v5, vcc_lo
	v_cmp_eq_u32_e32 vcc_lo, 0x40f, v9
	s_delay_alu instid0(VALU_DEP_2) | instskip(NEXT) | instid1(VALU_DEP_1)
	v_dual_cndmask_b32 v2, v5, v2 :: v_dual_lshrrev_b32 v5, 16, v13
	v_and_or_b32 v2, 0x8000, v5, v2
.LBB2_3:                                ;   in Loop: Header=BB2_4 Depth=1
	s_delay_alu instid0(VALU_DEP_1) | instskip(SKIP_1) | instid1(VALU_DEP_2)
	v_dual_ashrrev_i32 v11, 31, v10 :: v_dual_mov_b32 v9, v3
	v_add_nc_u32_e32 v4, 0x100, v4
	v_mad_nc_u64_u32 v[10:11], v6, s4, v[10:11]
	s_delay_alu instid0(VALU_DEP_2) | instskip(SKIP_1) | instid1(VALU_DEP_2)
	v_cmp_le_i32_e32 vcc_lo, s48, v4
	s_or_b32 s58, vcc_lo, s58
	v_mad_u32 v5, v7, s4, v11
	s_delay_alu instid0(VALU_DEP_1) | instskip(NEXT) | instid1(VALU_DEP_1)
	v_mad_u32 v11, v6, s5, v5
	v_mul_u64_e32 v[6:7], s[30:31], v[10:11]
	s_delay_alu instid0(VALU_DEP_1) | instskip(NEXT) | instid1(VALU_DEP_1)
	v_lshl_add_u64 v[6:7], v[6:7], 1, s[22:23]
	v_lshl_add_u64 v[6:7], v[8:9], 1, v[6:7]
	global_store_b16 v[6:7], v2, off
	s_wait_xcnt 0x0
	s_and_not1_b32 exec_lo, exec_lo, s58
	s_cbranch_execz .LBB2_59
.LBB2_4:                                ; =>This Loop Header: Depth=1
                                        ;     Child Loop BB2_9 Depth 2
                                        ;       Child Loop BB2_12 Depth 3
                                        ;         Child Loop BB2_19 Depth 4
	v_mov_b32_e32 v5, v3
	s_mov_b32 s1, -1
	s_delay_alu instid0(VALU_DEP_1) | instskip(NEXT) | instid1(VALU_DEP_1)
	v_mul_u64_e32 v[6:7], s[24:25], v[4:5]
	v_mul_lo_u32 v2, v7, s52
	s_delay_alu instid0(VALU_DEP_1) | instskip(NEXT) | instid1(VALU_DEP_1)
	v_sub_nc_u32_e32 v2, v4, v2
	v_subrev_nc_u32_e32 v8, s52, v2
	v_cmp_le_u32_e32 vcc_lo, s52, v2
	s_delay_alu instid0(VALU_DEP_2) | instskip(NEXT) | instid1(VALU_DEP_1)
	v_dual_add_nc_u32 v6, 1, v7 :: v_dual_cndmask_b32 v2, v2, v8, vcc_lo
	v_cndmask_b32_e32 v6, v7, v6, vcc_lo
	s_delay_alu instid0(VALU_DEP_2) | instskip(NEXT) | instid1(VALU_DEP_2)
	v_cmp_le_u32_e32 vcc_lo, s52, v2
	v_add_nc_u32_e32 v7, 1, v6
	s_delay_alu instid0(VALU_DEP_1) | instskip(SKIP_1) | instid1(VALU_DEP_1)
	v_cndmask_b32_e32 v2, v6, v7, vcc_lo
	v_mul_u64_e32 v[6:7], s[36:37], v[4:5]
	v_mul_lo_u32 v6, v7, s55
	s_delay_alu instid0(VALU_DEP_1) | instskip(NEXT) | instid1(VALU_DEP_1)
	v_sub_nc_u32_e32 v6, v4, v6
	v_cmp_le_u32_e32 vcc_lo, s55, v6
	v_xor_b32_e32 v2, s31, v2
	v_subrev_nc_u32_e32 v10, s55, v6
	s_delay_alu instid0(VALU_DEP_2) | instskip(NEXT) | instid1(VALU_DEP_1)
	v_subrev_nc_u32_e32 v5, s31, v2
	v_dual_cndmask_b32 v6, v6, v10, vcc_lo :: v_dual_sub_nc_u32 v2, 0, v5
	s_delay_alu instid0(VALU_DEP_1) | instskip(NEXT) | instid1(VALU_DEP_1)
	v_max_i32_e32 v2, v5, v2
	v_mul_u64_e32 v[8:9], s[18:19], v[2:3]
	v_add_nc_u32_e32 v8, 1, v7
	s_delay_alu instid0(VALU_DEP_1) | instskip(SKIP_1) | instid1(VALU_DEP_2)
	v_cndmask_b32_e32 v7, v7, v8, vcc_lo
	v_cmp_le_u32_e32 vcc_lo, s55, v6
	v_add_nc_u32_e32 v8, 1, v7
	s_delay_alu instid0(VALU_DEP_1) | instskip(SKIP_1) | instid1(VALU_DEP_1)
	v_cndmask_b32_e32 v6, v7, v8, vcc_lo
	v_mul_lo_u32 v9, v9, s53
	v_sub_nc_u32_e32 v2, v2, v9
	s_delay_alu instid0(VALU_DEP_1) | instskip(SKIP_1) | instid1(VALU_DEP_2)
	v_subrev_nc_u32_e32 v7, s53, v2
	v_cmp_le_u32_e32 vcc_lo, s53, v2
	v_dual_cndmask_b32 v2, v2, v7, vcc_lo :: v_dual_bitop2_b32 v6, s57, v6 bitop3:0x14
	s_delay_alu instid0(VALU_DEP_1) | instskip(SKIP_1) | instid1(VALU_DEP_2)
	v_subrev_nc_u32_e32 v6, s57, v6
	s_and_not1_b32 vcc_lo, exec_lo, s49
	v_cmp_le_u32_e64 s0, s53, v2
	s_delay_alu instid0(VALU_DEP_2)
	v_ashrrev_i32_e32 v7, 31, v6
	s_cbranch_vccnz .LBB2_6
; %bb.5:                                ;   in Loop: Header=BB2_4 Depth=1
	s_mov_b32 s1, 0
.LBB2_6:                                ;   in Loop: Header=BB2_4 Depth=1
	v_subrev_nc_u32_e32 v8, s53, v2
	v_mul_lo_u32 v9, v5, s30
	v_ashrrev_i32_e32 v5, 31, v5
	s_and_not1_b32 vcc_lo, exec_lo, s1
	s_delay_alu instid0(VALU_DEP_3) | instskip(NEXT) | instid1(VALU_DEP_1)
	v_cndmask_b32_e64 v2, v2, v8, s0
	v_xor_b32_e32 v2, v2, v5
	s_delay_alu instid0(VALU_DEP_4) | instskip(NEXT) | instid1(VALU_DEP_2)
	v_sub_nc_u32_e32 v8, v4, v9
	v_dual_sub_nc_u32 v10, v2, v5 :: v_dual_mov_b32 v2, 0
	s_cbranch_vccnz .LBB2_3
; %bb.7:                                ;   in Loop: Header=BB2_4 Depth=1
	s_delay_alu instid0(VALU_DEP_1) | instskip(NEXT) | instid1(VALU_DEP_3)
	v_mul_lo_u32 v5, v10, s13
	v_mad_u32 v9, v8, s14, s35
	v_mov_b64_e32 v[12:13], 0
	s_mov_b32 s59, 0
	s_mov_b64 s[16:17], s[38:39]
	s_branch .LBB2_9
.LBB2_8:                                ;   in Loop: Header=BB2_9 Depth=2
	s_add_co_i32 s59, s59, 1
	s_add_nc_u64 s[16:17], s[16:17], s[40:41]
	s_cmp_eq_u32 s59, s6
	s_cbranch_scc1 .LBB2_2
.LBB2_9:                                ;   Parent Loop BB2_4 Depth=1
                                        ; =>  This Loop Header: Depth=2
                                        ;       Child Loop BB2_12 Depth 3
                                        ;         Child Loop BB2_19 Depth 4
	s_and_not1_b32 vcc_lo, exec_lo, s50
	s_cbranch_vccnz .LBB2_8
; %bb.10:                               ;   in Loop: Header=BB2_9 Depth=2
	v_mad_nc_u64_u32 v[14:15], s59, s54, v[6:7]
	s_mov_b32 s60, 0
	s_mov_b64 s[44:45], s[16:17]
	s_delay_alu instid0(VALU_DEP_1) | instskip(NEXT) | instid1(VALU_DEP_1)
	v_mad_u32 v15, s59, s7, v15
	v_mul_u64_e32 v[14:15], s[26:27], v[14:15]
	s_branch .LBB2_12
.LBB2_11:                               ;   in Loop: Header=BB2_12 Depth=3
	s_add_co_i32 s60, s60, 1
	s_add_nc_u64 s[44:45], s[44:45], s[42:43]
	s_cmp_eq_u32 s60, s34
	s_cbranch_scc1 .LBB2_8
.LBB2_12:                               ;   Parent Loop BB2_4 Depth=1
                                        ;     Parent Loop BB2_9 Depth=2
                                        ; =>    This Loop Header: Depth=3
                                        ;         Child Loop BB2_19 Depth 4
	s_and_not1_b32 vcc_lo, exec_lo, s51
	s_cbranch_vccnz .LBB2_11
; %bb.13:                               ;   in Loop: Header=BB2_12 Depth=3
	s_mul_i32 s0, s60, s11
	s_mov_b64 s[46:47], s[44:45]
	s_sub_co_i32 s0, s0, s15
	s_mov_b32 s62, s10
	v_add_nc_u32_e32 v2, s0, v5
	s_delay_alu instid0(VALU_DEP_1)
	v_add_nc_u64_e32 v[16:17], v[14:15], v[2:3]
	v_cmp_gt_i32_e32 vcc_lo, 0, v2
	v_cmp_le_i32_e64 s0, s26, v2
	v_mov_b32_e32 v2, v9
	s_or_b32 s61, vcc_lo, s0
	v_mul_u64_e32 v[16:17], s[28:29], v[16:17]
	s_delay_alu instid0(VALU_DEP_1)
	v_lshl_add_u64 v[16:17], v[16:17], 2, s[20:21]
	s_branch .LBB2_19
.LBB2_14:                               ;   in Loop: Header=BB2_19 Depth=4
	s_or_b32 exec_lo, exec_lo, s65
	s_delay_alu instid0(VALU_DEP_1) | instskip(SKIP_1) | instid1(VALU_DEP_2)
	v_dual_lshlrev_b32 v11, 24, v19 :: v_dual_lshlrev_b32 v19, 20, v22
	v_lshl_add_u32 v20, v23, 23, 0x3c000000
	v_and_b32_e32 v11, 0x80000000, v11
	s_delay_alu instid0(VALU_DEP_1)
	v_or3_b32 v20, v11, v20, v19
.LBB2_15:                               ;   in Loop: Header=BB2_19 Depth=4
	s_or_b32 exec_lo, exec_lo, s64
.LBB2_16:                               ;   in Loop: Header=BB2_19 Depth=4
	s_delay_alu instid0(SALU_CYCLE_1)
	s_or_b32 exec_lo, exec_lo, s1
.LBB2_17:                               ;   in Loop: Header=BB2_19 Depth=4
	s_delay_alu instid0(SALU_CYCLE_1) | instskip(SKIP_2) | instid1(VALU_DEP_1)
	s_or_b32 exec_lo, exec_lo, s0
	v_cvt_f64_f32_e32 v[22:23], v21
	v_cvt_f64_f32_e32 v[20:21], v20
	v_fmac_f64_e32 v[12:13], v[22:23], v[20:21]
.LBB2_18:                               ;   in Loop: Header=BB2_19 Depth=4
	s_or_b32 exec_lo, exec_lo, s63
	v_add_nc_u32_e32 v2, s12, v2
	s_add_co_i32 s62, s62, -1
	s_wait_xcnt 0x0
	s_add_nc_u64 s[46:47], s[46:47], 4
	s_cmp_eq_u32 s62, 0
	s_cbranch_scc1 .LBB2_11
.LBB2_19:                               ;   Parent Loop BB2_4 Depth=1
                                        ;     Parent Loop BB2_9 Depth=2
                                        ;       Parent Loop BB2_12 Depth=3
                                        ; =>      This Inner Loop Header: Depth=4
	v_cmp_gt_i32_e32 vcc_lo, 0, v2
	v_cmp_le_i32_e64 s0, s28, v2
	s_or_b32 s0, vcc_lo, s0
	s_delay_alu instid0(SALU_CYCLE_1) | instskip(NEXT) | instid1(SALU_CYCLE_1)
	s_nor_b32 s0, s61, s0
	s_and_saveexec_b32 s63, s0
	s_cbranch_execz .LBB2_18
; %bb.20:                               ;   in Loop: Header=BB2_19 Depth=4
	v_lshl_add_u64 v[20:21], v[2:3], 2, v[16:17]
	v_mov_b32_e32 v22, 0
	s_and_not1_b32 vcc_lo, exec_lo, s2
	global_load_b32 v21, v[20:21], off
	s_wait_xcnt 0x0
	v_mov_b32_e32 v20, 0
	s_cbranch_vccnz .LBB2_22
; %bb.21:                               ;   in Loop: Header=BB2_19 Depth=4
	s_load_b32 s0, s[8:9], 0xc
	s_wait_loadcnt 0x0
	v_lshrrev_b32_e32 v11, 16, v21
	s_load_b32 s1, s[46:47], 0x0
	s_delay_alu instid0(VALU_DEP_1) | instskip(NEXT) | instid1(VALU_DEP_1)
	v_bitop3_b32 v11, v21, v11, 0xffff bitop3:0x6c
	v_dual_lshlrev_b32 v19, 11, v11 :: v_dual_lshrrev_b32 v11, 5, v11
	s_delay_alu instid0(VALU_DEP_1) | instskip(SKIP_2) | instid1(VALU_DEP_1)
	v_and_or_b32 v11, 0xf800, v19, v11
	s_wait_kmcnt 0x0
	s_and_b32 s0, s0, 0xffff
	v_mul_lo_u32 v11, 0x7000149, v11
	v_mad_u32 v20, s33, s0, v0
	s_and_b32 s0, s1, 0xffff
	s_lshr_b32 s1, s1, 16
	s_delay_alu instid0(SALU_CYCLE_1) | instskip(NEXT) | instid1(SALU_CYCLE_1)
	s_xor_b32 s0, s0, s1
	s_lshl_b32 s1, s0, 11
	s_lshr_b32 s0, s0, 5
	s_and_b32 s1, s1, 0xf800
	s_delay_alu instid0(VALU_DEP_2) | instskip(NEXT) | instid1(VALU_DEP_2)
	v_xor_b32_e32 v11, s3, v11
	v_mul_lo_u32 v19, 0x3819f, v20
	s_or_b32 s0, s1, s0
	s_delay_alu instid0(SALU_CYCLE_1) | instskip(NEXT) | instid1(VALU_DEP_1)
	s_mul_i32 s0, s0, 0x7000149
	v_xor3_b32 v22, v11, v19, 0x13371337
	v_xor3_b32 v20, s56, s0, v19
.LBB2_22:                               ;   in Loop: Header=BB2_19 Depth=4
	s_wait_loadcnt 0x0
	v_lshrrev_b32_e32 v11, 24, v21
	v_and_b32_e32 v24, 0x7f800000, v21
	v_and_b32_e32 v23, 0x7fffff, v21
	s_mov_b32 s0, exec_lo
	s_delay_alu instid0(VALU_DEP_3) | instskip(NEXT) | instid1(VALU_DEP_3)
	v_and_b32_e32 v19, 0x80, v11
                                        ; implicit-def: $vgpr11
	v_cmpx_ne_u32_e32 0x7f800000, v24
	s_xor_b32 s64, exec_lo, s0
	s_cbranch_execz .LBB2_30
; %bb.23:                               ;   in Loop: Header=BB2_19 Depth=4
	v_mov_b32_e32 v11, 0
	s_mov_b32 s65, exec_lo
	v_cmpx_ne_u32_e32 0, v21
	s_cbranch_execz .LBB2_29
; %bb.24:                               ;   in Loop: Header=BB2_19 Depth=4
	v_bfe_u32 v11, v21, 23, 8
	v_or_b32_e32 v24, 0x800000, v23
	s_delay_alu instid0(VALU_DEP_2) | instskip(SKIP_1) | instid1(VALU_DEP_2)
	v_sub_nc_u32_e32 v21, 0x79, v11
	v_cmp_gt_u32_e32 vcc_lo, 0x7a, v11
	v_cndmask_b32_e32 v21, 0, v21, vcc_lo
	v_cmp_eq_u32_e32 vcc_lo, 0, v11
	v_add_nc_u32_e32 v11, 0xffffff88, v11
	v_cndmask_b32_e32 v23, v24, v23, vcc_lo
	s_delay_alu instid0(VALU_DEP_4) | instskip(NEXT) | instid1(VALU_DEP_3)
	v_cndmask_b32_e64 v21, v21, 0x78, vcc_lo
	v_cndmask_b32_e64 v11, v11, 0xffffff89, vcc_lo
	s_delay_alu instid0(VALU_DEP_2) | instskip(NEXT) | instid1(VALU_DEP_4)
	v_lshl_add_u32 v24, 0x100000, v21, -1
	v_lshrrev_b32_e32 v25, v21, v23
	v_lshlrev_b32_e64 v26, v21, 0x80000
	v_cmp_lt_u32_e64 s0, 3, v21
	s_delay_alu instid0(VALU_DEP_4) | instskip(NEXT) | instid1(VALU_DEP_4)
	v_and_b32_e32 v23, v24, v23
	v_bfe_u32 v24, v25, 20, 1
	v_cndmask_b32_e64 v22, v25, v22, s2
	s_or_b32 s0, s2, s0
	s_delay_alu instid0(VALU_DEP_3) | instskip(NEXT) | instid1(VALU_DEP_3)
	v_cmp_ne_u32_e64 s1, v23, v26
	v_add3_u32 v23, v25, v24, -1
	v_lshrrev_b32_e32 v24, 23, v25
	s_or_b32 vcc_lo, s0, s1
	s_mov_b32 s0, exec_lo
	s_delay_alu instid0(VALU_DEP_2) | instskip(NEXT) | instid1(VALU_DEP_1)
	v_dual_cndmask_b32 v23, v23, v22 :: v_dual_add_nc_u32 v22, v21, v11
                                        ; implicit-def: $vgpr21
	v_and_b32_e32 v11, 0xfffff, v23
	s_delay_alu instid0(VALU_DEP_1) | instskip(NEXT) | instid1(VALU_DEP_1)
	v_dual_add_nc_u32 v11, v11, v25 :: v_dual_bitop2_b32 v23, 1, v24 bitop3:0x14
	v_cmpx_ne_u32_e64 v22, v23
	s_xor_b32 s0, exec_lo, s0
; %bb.25:                               ;   in Loop: Header=BB2_19 Depth=4
	s_delay_alu instid0(VALU_DEP_2) | instskip(SKIP_2) | instid1(VALU_DEP_2)
	v_cmp_lt_u32_e32 vcc_lo, 0xffffff, v11
	v_sub_nc_u32_e32 v21, v22, v23
	v_cndmask_b32_e64 v22, 0, 1, vcc_lo
	v_add_co_ci_u32_e64 v21, null, 0, v21, vcc_lo
	s_delay_alu instid0(VALU_DEP_2)
	v_lshrrev_b32_e32 v11, v22, v11
; %bb.26:                               ;   in Loop: Header=BB2_19 Depth=4
	s_and_not1_saveexec_b32 s0, s0
; %bb.27:                               ;   in Loop: Header=BB2_19 Depth=4
	s_delay_alu instid0(VALU_DEP_1)
	v_bfe_u32 v21, v11, 23, 1
; %bb.28:                               ;   in Loop: Header=BB2_19 Depth=4
	s_or_b32 exec_lo, exec_lo, s0
	s_delay_alu instid0(VALU_DEP_1) | instskip(SKIP_1) | instid1(VALU_DEP_2)
	v_dual_lshrrev_b32 v11, 20, v11 :: v_dual_min_i32 v22, 14, v21
	v_cmp_gt_i32_e32 vcc_lo, 15, v21
	v_dual_cndmask_b32 v11, 7, v11 :: v_dual_lshlrev_b32 v22, 3, v22
	s_delay_alu instid0(VALU_DEP_1) | instskip(NEXT) | instid1(VALU_DEP_2)
	v_or_b32_e32 v21, v21, v11
	v_and_or_b32 v11, v11, 7, v22
	s_delay_alu instid0(VALU_DEP_2) | instskip(NEXT) | instid1(VALU_DEP_2)
	v_cmp_ne_u32_e32 vcc_lo, 0, v21
	v_cndmask_b32_e32 v11, 0, v11, vcc_lo
	s_delay_alu instid0(VALU_DEP_1)
	v_or_b32_e32 v11, v11, v19
.LBB2_29:                               ;   in Loop: Header=BB2_19 Depth=4
	s_or_b32 exec_lo, exec_lo, s65
                                        ; implicit-def: $vgpr23
                                        ; implicit-def: $vgpr19
.LBB2_30:                               ;   in Loop: Header=BB2_19 Depth=4
	s_and_not1_saveexec_b32 s0, s64
; %bb.31:                               ;   in Loop: Header=BB2_19 Depth=4
	v_cmp_ne_u32_e32 vcc_lo, 0, v23
	v_cndmask_b32_e64 v11, 0, 1, vcc_lo
	s_delay_alu instid0(VALU_DEP_1) | instskip(NEXT) | instid1(VALU_DEP_1)
	v_or_b32_e32 v11, v19, v11
	v_or_b32_e32 v11, 0x78, v11
; %bb.32:                               ;   in Loop: Header=BB2_19 Depth=4
	s_or_b32 exec_lo, exec_lo, s0
	s_load_b32 s64, s[46:47], 0x0
                                        ; implicit-def: $vgpr19
	s_wait_kmcnt 0x0
	s_lshr_b32 s1, s64, 24
	s_and_b32 s65, s64, 0x7f800000
	s_and_b32 s0, s64, 0x7fffff
	;; [unrolled: 1-line block ×3, first 2 shown]
	s_cmp_lg_u32 s65, 0x7f800000
	s_mov_b32 s65, -1
	s_cbranch_scc0 .LBB2_39
; %bb.33:                               ;   in Loop: Header=BB2_19 Depth=4
	s_cmp_eq_u32 s64, 0
	s_cbranch_scc1 .LBB2_58
; %bb.34:                               ;   in Loop: Header=BB2_19 Depth=4
	s_bfe_u32 s64, s64, 0x80017
                                        ; implicit-def: $vgpr21
	s_delay_alu instid0(SALU_CYCLE_1)
	s_sub_co_i32 s65, 0x79, s64
	s_cmp_lt_u32 s64, 0x7a
	s_cselect_b32 s65, s65, 0
	s_or_b32 s66, s0, 0x800000
	s_add_co_i32 s67, s64, 0xffffff88
	s_cmp_eq_u32 s64, 0
	s_cselect_b32 s65, 0x78, s65
	s_cselect_b32 s64, s0, s66
	;; [unrolled: 1-line block ×3, first 2 shown]
	s_cmp_gt_u32 s65, 3
	s_cselect_b32 s67, -1, 0
	s_lshl_b32 s68, 0x100000, s65
	s_lshl_b32 s69, 0x80000, s65
	s_add_co_i32 s68, s68, -1
	s_delay_alu instid0(SALU_CYCLE_1) | instskip(NEXT) | instid1(SALU_CYCLE_1)
	s_and_b32 s68, s68, s64
	s_cmp_lg_u32 s68, s69
	s_cselect_b32 s68, -1, 0
	s_lshr_b32 s64, s64, s65
	s_or_b32 s67, s2, s67
	s_bfe_u32 s69, s64, 0x10014
	v_cndmask_b32_e64 v19, s64, v20, s2
	s_add_co_i32 s69, s64, s69
	s_or_b32 vcc_lo, s67, s68
	s_add_co_i32 s69, s69, -1
	s_lshr_b32 s67, s64, 23
	v_cndmask_b32_e32 v19, s69, v19, vcc_lo
	s_add_co_i32 s65, s65, s66
	s_xor_b32 s66, s67, 1
                                        ; implicit-def: $vgpr20
	s_delay_alu instid0(SALU_CYCLE_1) | instskip(NEXT) | instid1(VALU_DEP_1)
	s_cmp_lg_u32 s65, s66
	v_and_b32_e32 v19, 0xfffff, v19
	s_delay_alu instid0(VALU_DEP_1)
	v_add_nc_u32_e32 v19, s64, v19
	s_mov_b32 s64, -1
	s_cbranch_scc0 .LBB2_36
; %bb.35:                               ;   in Loop: Header=BB2_19 Depth=4
	s_delay_alu instid0(VALU_DEP_1)
	v_cmp_lt_u32_e32 vcc_lo, 0xffffff, v19
	s_sub_co_i32 s64, s65, s66
	v_cndmask_b32_e64 v21, 0, 1, vcc_lo
	v_add_co_ci_u32_e64 v20, null, s64, 0, vcc_lo
	s_mov_b32 s64, 0
	v_lshrrev_b32_e32 v21, v21, v19
.LBB2_36:                               ;   in Loop: Header=BB2_19 Depth=4
	s_and_not1_b32 vcc_lo, exec_lo, s64
	s_cbranch_vccnz .LBB2_38
; %bb.37:                               ;   in Loop: Header=BB2_19 Depth=4
	v_bfe_u32 v20, v19, 23, 1
	v_mov_b32_e32 v21, v19
.LBB2_38:                               ;   in Loop: Header=BB2_19 Depth=4
	s_delay_alu instid0(VALU_DEP_1) | instskip(SKIP_2) | instid1(VALU_DEP_2)
	v_dual_lshrrev_b32 v19, 20, v21 :: v_dual_min_i32 v21, 14, v20
	v_cmp_gt_i32_e32 vcc_lo, 15, v20
	s_mov_b32 s65, 0
	v_dual_lshlrev_b32 v21, 3, v21 :: v_dual_cndmask_b32 v19, 7, v19, vcc_lo
	s_delay_alu instid0(VALU_DEP_1) | instskip(NEXT) | instid1(VALU_DEP_2)
	v_or_b32_e32 v20, v20, v19
	v_and_or_b32 v19, v19, 7, v21
	s_delay_alu instid0(VALU_DEP_2) | instskip(NEXT) | instid1(VALU_DEP_2)
	v_cmp_ne_u32_e32 vcc_lo, 0, v20
	v_cndmask_b32_e32 v19, 0, v19, vcc_lo
	s_delay_alu instid0(VALU_DEP_1)
	v_or_b32_e32 v19, s1, v19
.LBB2_39:                               ;   in Loop: Header=BB2_19 Depth=4
	s_and_not1_b32 vcc_lo, exec_lo, s65
	s_cbranch_vccnz .LBB2_41
.LBB2_40:                               ;   in Loop: Header=BB2_19 Depth=4
	s_cmp_lg_u32 s0, 0
	s_cselect_b32 s0, -1, 0
	s_delay_alu instid0(SALU_CYCLE_1) | instskip(NEXT) | instid1(VALU_DEP_1)
	v_cndmask_b32_e64 v19, 0, 1, s0
	v_or_b32_e32 v19, s1, v19
	s_delay_alu instid0(VALU_DEP_1)
	v_or_b32_e32 v19, 0x78, v19
.LBB2_41:                               ;   in Loop: Header=BB2_19 Depth=4
	v_and_b32_e32 v22, 0xff, v11
	v_dual_mov_b32 v20, 0 :: v_dual_mov_b32 v21, 0
	s_mov_b32 s0, exec_lo
	s_delay_alu instid0(VALU_DEP_2)
	v_cmpx_ne_u16_e32 0, v22
	s_cbranch_execz .LBB2_51
; %bb.42:                               ;   in Loop: Header=BB2_19 Depth=4
	v_bfrev_b32_e32 v21, 1
	s_mov_b32 s1, exec_lo
	v_cmpx_ne_u16_e32 0x80, v22
	s_cbranch_execz .LBB2_50
; %bb.43:                               ;   in Loop: Header=BB2_19 Depth=4
	v_lshrrev_b16 v21, 3, v11
	v_and_b32_e32 v23, 7, v11
	s_mov_b32 s64, exec_lo
	s_delay_alu instid0(VALU_DEP_2) | instskip(NEXT) | instid1(VALU_DEP_1)
	v_and_b32_e32 v24, 15, v21
                                        ; implicit-def: $vgpr21
	v_cmpx_lt_i32_e32 14, v24
	s_xor_b32 s64, exec_lo, s64
; %bb.44:                               ;   in Loop: Header=BB2_19 Depth=4
	v_bfe_i32 v11, v11, 0, 8
                                        ; implicit-def: $vgpr24
                                        ; implicit-def: $vgpr22
	s_delay_alu instid0(VALU_DEP_1) | instskip(SKIP_2) | instid1(VALU_DEP_2)
	v_cmp_lt_i16_e32 vcc_lo, -1, v11
	v_cndmask_b32_e32 v11, 0xff800000, v1, vcc_lo
	v_cmp_eq_u32_e32 vcc_lo, 0, v23
                                        ; implicit-def: $vgpr23
	v_cndmask_b32_e32 v21, 0x7f800001, v11, vcc_lo
                                        ; implicit-def: $vgpr11
; %bb.45:                               ;   in Loop: Header=BB2_19 Depth=4
	s_and_not1_saveexec_b32 s64, s64
	s_cbranch_execz .LBB2_49
; %bb.46:                               ;   in Loop: Header=BB2_19 Depth=4
	s_mov_b32 s65, exec_lo
	v_cmpx_eq_u32_e32 0, v24
; %bb.47:                               ;   in Loop: Header=BB2_19 Depth=4
	v_clz_i32_u32_e32 v21, v23
	s_delay_alu instid0(VALU_DEP_1) | instskip(NEXT) | instid1(VALU_DEP_1)
	v_subrev_nc_u32_e32 v23, 28, v21
	v_dual_sub_nc_u32 v24, 29, v21 :: v_dual_lshlrev_b32 v22, v23, v22
	s_delay_alu instid0(VALU_DEP_1)
	v_and_b32_e32 v23, 7, v22
; %bb.48:                               ;   in Loop: Header=BB2_19 Depth=4
	s_or_b32 exec_lo, exec_lo, s65
	v_lshlrev_b32_e32 v11, 24, v11
	s_delay_alu instid0(VALU_DEP_2) | instskip(SKIP_1) | instid1(VALU_DEP_3)
	v_lshlrev_b32_e32 v21, 20, v23
	v_lshl_add_u32 v22, v24, 23, 0x3c000000
	v_and_b32_e32 v11, 0x80000000, v11
	s_delay_alu instid0(VALU_DEP_1)
	v_or3_b32 v21, v11, v22, v21
.LBB2_49:                               ;   in Loop: Header=BB2_19 Depth=4
	s_or_b32 exec_lo, exec_lo, s64
.LBB2_50:                               ;   in Loop: Header=BB2_19 Depth=4
	s_delay_alu instid0(SALU_CYCLE_1)
	s_or_b32 exec_lo, exec_lo, s1
.LBB2_51:                               ;   in Loop: Header=BB2_19 Depth=4
	s_delay_alu instid0(SALU_CYCLE_1) | instskip(SKIP_2) | instid1(VALU_DEP_1)
	s_or_b32 exec_lo, exec_lo, s0
	v_and_b32_e32 v11, 0xff, v19
	s_mov_b32 s0, exec_lo
	v_cmpx_ne_u16_e32 0, v11
	s_cbranch_execz .LBB2_17
; %bb.52:                               ;   in Loop: Header=BB2_19 Depth=4
	v_bfrev_b32_e32 v20, 1
	s_mov_b32 s1, exec_lo
	v_cmpx_ne_u16_e32 0x80, v11
	s_cbranch_execz .LBB2_16
; %bb.53:                               ;   in Loop: Header=BB2_19 Depth=4
	v_lshrrev_b16 v20, 3, v19
	v_and_b32_e32 v22, 7, v19
	s_mov_b32 s64, exec_lo
	s_delay_alu instid0(VALU_DEP_2) | instskip(NEXT) | instid1(VALU_DEP_1)
	v_and_b32_e32 v23, 15, v20
                                        ; implicit-def: $vgpr20
	v_cmpx_lt_i32_e32 14, v23
	s_xor_b32 s64, exec_lo, s64
; %bb.54:                               ;   in Loop: Header=BB2_19 Depth=4
	v_bfe_i32 v11, v19, 0, 8
                                        ; implicit-def: $vgpr23
                                        ; implicit-def: $vgpr19
	s_delay_alu instid0(VALU_DEP_1) | instskip(SKIP_2) | instid1(VALU_DEP_2)
	v_cmp_lt_i16_e32 vcc_lo, -1, v11
	v_cndmask_b32_e32 v11, 0xff800000, v1, vcc_lo
	v_cmp_eq_u32_e32 vcc_lo, 0, v22
                                        ; implicit-def: $vgpr22
	v_cndmask_b32_e32 v20, 0x7f800001, v11, vcc_lo
                                        ; implicit-def: $vgpr11
; %bb.55:                               ;   in Loop: Header=BB2_19 Depth=4
	s_and_not1_saveexec_b32 s64, s64
	s_cbranch_execz .LBB2_15
; %bb.56:                               ;   in Loop: Header=BB2_19 Depth=4
	s_mov_b32 s65, exec_lo
	v_cmpx_eq_u32_e32 0, v23
	s_cbranch_execz .LBB2_14
; %bb.57:                               ;   in Loop: Header=BB2_19 Depth=4
	v_clz_i32_u32_e32 v20, v22
	s_delay_alu instid0(VALU_DEP_1) | instskip(NEXT) | instid1(VALU_DEP_1)
	v_subrev_nc_u32_e32 v22, 28, v20
	v_dual_sub_nc_u32 v23, 29, v20 :: v_dual_lshlrev_b32 v11, v22, v11
	s_delay_alu instid0(VALU_DEP_1)
	v_and_b32_e32 v22, 7, v11
	s_branch .LBB2_14
.LBB2_58:                               ;   in Loop: Header=BB2_19 Depth=4
	v_mov_b32_e32 v19, 0
	s_cbranch_execz .LBB2_40
	s_branch .LBB2_41
.LBB2_59:
	s_endpgm
	.section	.rodata,"a",@progbits
	.p2align	6, 0x0
	.amdhsa_kernel naive_conv_nonpacked_wrw_nchw_float_half_float
		.amdhsa_group_segment_fixed_size 0
		.amdhsa_private_segment_fixed_size 0
		.amdhsa_kernarg_size 352
		.amdhsa_user_sgpr_count 2
		.amdhsa_user_sgpr_dispatch_ptr 0
		.amdhsa_user_sgpr_queue_ptr 0
		.amdhsa_user_sgpr_kernarg_segment_ptr 1
		.amdhsa_user_sgpr_dispatch_id 0
		.amdhsa_user_sgpr_kernarg_preload_length 0
		.amdhsa_user_sgpr_kernarg_preload_offset 0
		.amdhsa_user_sgpr_private_segment_size 0
		.amdhsa_wavefront_size32 1
		.amdhsa_uses_dynamic_stack 0
		.amdhsa_enable_private_segment 0
		.amdhsa_system_sgpr_workgroup_id_x 1
		.amdhsa_system_sgpr_workgroup_id_y 0
		.amdhsa_system_sgpr_workgroup_id_z 0
		.amdhsa_system_sgpr_workgroup_info 0
		.amdhsa_system_vgpr_workitem_id 0
		.amdhsa_next_free_vgpr 27
		.amdhsa_next_free_sgpr 70
		.amdhsa_named_barrier_count 0
		.amdhsa_reserve_vcc 1
		.amdhsa_float_round_mode_32 0
		.amdhsa_float_round_mode_16_64 0
		.amdhsa_float_denorm_mode_32 3
		.amdhsa_float_denorm_mode_16_64 3
		.amdhsa_fp16_overflow 0
		.amdhsa_memory_ordered 1
		.amdhsa_forward_progress 1
		.amdhsa_inst_pref_size 25
		.amdhsa_round_robin_scheduling 0
		.amdhsa_exception_fp_ieee_invalid_op 0
		.amdhsa_exception_fp_denorm_src 0
		.amdhsa_exception_fp_ieee_div_zero 0
		.amdhsa_exception_fp_ieee_overflow 0
		.amdhsa_exception_fp_ieee_underflow 0
		.amdhsa_exception_fp_ieee_inexact 0
		.amdhsa_exception_int_div_zero 0
	.end_amdhsa_kernel
	.text
.Lfunc_end2:
	.size	naive_conv_nonpacked_wrw_nchw_float_half_float, .Lfunc_end2-naive_conv_nonpacked_wrw_nchw_float_half_float
                                        ; -- End function
	.set naive_conv_nonpacked_wrw_nchw_float_half_float.num_vgpr, 27
	.set naive_conv_nonpacked_wrw_nchw_float_half_float.num_agpr, 0
	.set naive_conv_nonpacked_wrw_nchw_float_half_float.numbered_sgpr, 70
	.set naive_conv_nonpacked_wrw_nchw_float_half_float.num_named_barrier, 0
	.set naive_conv_nonpacked_wrw_nchw_float_half_float.private_seg_size, 0
	.set naive_conv_nonpacked_wrw_nchw_float_half_float.uses_vcc, 1
	.set naive_conv_nonpacked_wrw_nchw_float_half_float.uses_flat_scratch, 0
	.set naive_conv_nonpacked_wrw_nchw_float_half_float.has_dyn_sized_stack, 0
	.set naive_conv_nonpacked_wrw_nchw_float_half_float.has_recursion, 0
	.set naive_conv_nonpacked_wrw_nchw_float_half_float.has_indirect_call, 0
	.section	.AMDGPU.csdata,"",@progbits
; Kernel info:
; codeLenInByte = 3184
; TotalNumSgprs: 72
; NumVgprs: 27
; ScratchSize: 0
; MemoryBound: 0
; FloatMode: 240
; IeeeMode: 1
; LDSByteSize: 0 bytes/workgroup (compile time only)
; SGPRBlocks: 0
; VGPRBlocks: 1
; NumSGPRsForWavesPerEU: 72
; NumVGPRsForWavesPerEU: 27
; NamedBarCnt: 0
; Occupancy: 16
; WaveLimiterHint : 0
; COMPUTE_PGM_RSRC2:SCRATCH_EN: 0
; COMPUTE_PGM_RSRC2:USER_SGPR: 2
; COMPUTE_PGM_RSRC2:TRAP_HANDLER: 0
; COMPUTE_PGM_RSRC2:TGID_X_EN: 1
; COMPUTE_PGM_RSRC2:TGID_Y_EN: 0
; COMPUTE_PGM_RSRC2:TGID_Z_EN: 0
; COMPUTE_PGM_RSRC2:TIDIG_COMP_CNT: 0
	.text
	.p2alignl 7, 3214868480
	.fill 96, 4, 3214868480
	.section	.AMDGPU.gpr_maximums,"",@progbits
	.set amdgpu.max_num_vgpr, 0
	.set amdgpu.max_num_agpr, 0
	.set amdgpu.max_num_sgpr, 0
	.text
	.type	__hip_cuid_88ce48f7dbe56e07,@object ; @__hip_cuid_88ce48f7dbe56e07
	.section	.bss,"aw",@nobits
	.globl	__hip_cuid_88ce48f7dbe56e07
__hip_cuid_88ce48f7dbe56e07:
	.byte	0                               ; 0x0
	.size	__hip_cuid_88ce48f7dbe56e07, 1

	.ident	"AMD clang version 22.0.0git (https://github.com/RadeonOpenCompute/llvm-project roc-7.2.4 26084 f58b06dce1f9c15707c5f808fd002e18c2accf7e)"
	.section	".note.GNU-stack","",@progbits
	.addrsig
	.addrsig_sym __hip_cuid_88ce48f7dbe56e07
	.amdgpu_metadata
---
amdhsa.kernels:
  - .args:
      - .actual_access:  read_only
        .address_space:  global
        .offset:         0
        .size:           8
        .value_kind:     global_buffer
      - .actual_access:  read_only
        .address_space:  global
        .offset:         8
        .size:           8
        .value_kind:     global_buffer
      - .actual_access:  write_only
        .address_space:  global
        .offset:         16
        .size:           8
        .value_kind:     global_buffer
      - .offset:         24
        .size:           4
        .value_kind:     by_value
      - .offset:         28
        .size:           4
        .value_kind:     by_value
      - .offset:         32
        .size:           4
        .value_kind:     by_value
      - .offset:         36
        .size:           4
        .value_kind:     by_value
      - .offset:         40
        .size:           4
        .value_kind:     by_value
      - .offset:         44
        .size:           4
        .value_kind:     by_value
      - .offset:         48
        .size:           4
        .value_kind:     by_value
      - .offset:         52
        .size:           4
        .value_kind:     by_value
      - .offset:         56
        .size:           4
        .value_kind:     by_value
      - .offset:         60
        .size:           4
        .value_kind:     by_value
      - .offset:         64
        .size:           4
        .value_kind:     by_value
      - .offset:         68
        .size:           4
        .value_kind:     by_value
      - .offset:         72
        .size:           4
        .value_kind:     by_value
      - .offset:         76
        .size:           4
        .value_kind:     by_value
      - .offset:         80
        .size:           4
        .value_kind:     by_value
      - .offset:         84
        .size:           4
        .value_kind:     by_value
      - .offset:         88
        .size:           1
        .value_kind:     by_value
      - .offset:         92
        .size:           4
        .value_kind:     by_value
      - .offset:         96
        .size:           4
        .value_kind:     hidden_block_count_x
      - .offset:         100
        .size:           4
        .value_kind:     hidden_block_count_y
      - .offset:         104
        .size:           4
        .value_kind:     hidden_block_count_z
      - .offset:         108
        .size:           2
        .value_kind:     hidden_group_size_x
      - .offset:         110
        .size:           2
        .value_kind:     hidden_group_size_y
      - .offset:         112
        .size:           2
        .value_kind:     hidden_group_size_z
      - .offset:         114
        .size:           2
        .value_kind:     hidden_remainder_x
      - .offset:         116
        .size:           2
        .value_kind:     hidden_remainder_y
      - .offset:         118
        .size:           2
        .value_kind:     hidden_remainder_z
      - .offset:         136
        .size:           8
        .value_kind:     hidden_global_offset_x
      - .offset:         144
        .size:           8
        .value_kind:     hidden_global_offset_y
      - .offset:         152
        .size:           8
        .value_kind:     hidden_global_offset_z
      - .offset:         160
        .size:           2
        .value_kind:     hidden_grid_dims
    .group_segment_fixed_size: 0
    .kernarg_segment_align: 8
    .kernarg_segment_size: 352
    .language:       OpenCL C
    .language_version:
      - 2
      - 0
    .max_flat_workgroup_size: 1024
    .name:           naive_conv_nonpacked_fwd_nchw_float_half_float
    .private_segment_fixed_size: 0
    .sgpr_count:     75
    .sgpr_spill_count: 0
    .symbol:         naive_conv_nonpacked_fwd_nchw_float_half_float.kd
    .uniform_work_group_size: 1
    .uses_dynamic_stack: false
    .vgpr_count:     22
    .vgpr_spill_count: 0
    .wavefront_size: 32
  - .args:
      - .actual_access:  write_only
        .address_space:  global
        .offset:         0
        .size:           8
        .value_kind:     global_buffer
      - .actual_access:  read_only
        .address_space:  global
        .offset:         8
        .size:           8
        .value_kind:     global_buffer
      - .actual_access:  read_only
        .address_space:  global
        .offset:         16
        .size:           8
        .value_kind:     global_buffer
      - .offset:         24
        .size:           4
        .value_kind:     by_value
      - .offset:         28
        .size:           4
        .value_kind:     by_value
      - .offset:         32
        .size:           4
        .value_kind:     by_value
      - .offset:         36
        .size:           4
        .value_kind:     by_value
      - .offset:         40
        .size:           4
        .value_kind:     by_value
      - .offset:         44
        .size:           4
        .value_kind:     by_value
      - .offset:         48
        .size:           4
        .value_kind:     by_value
      - .offset:         52
        .size:           4
        .value_kind:     by_value
      - .offset:         56
        .size:           4
        .value_kind:     by_value
      - .offset:         60
        .size:           4
        .value_kind:     by_value
      - .offset:         64
        .size:           4
        .value_kind:     by_value
      - .offset:         68
        .size:           4
        .value_kind:     by_value
      - .offset:         72
        .size:           4
        .value_kind:     by_value
      - .offset:         76
        .size:           4
        .value_kind:     by_value
      - .offset:         80
        .size:           4
        .value_kind:     by_value
      - .offset:         84
        .size:           4
        .value_kind:     by_value
      - .offset:         88
        .size:           1
        .value_kind:     by_value
      - .offset:         92
        .size:           4
        .value_kind:     by_value
      - .offset:         96
        .size:           4
        .value_kind:     hidden_block_count_x
      - .offset:         100
        .size:           4
        .value_kind:     hidden_block_count_y
      - .offset:         104
        .size:           4
        .value_kind:     hidden_block_count_z
      - .offset:         108
        .size:           2
        .value_kind:     hidden_group_size_x
      - .offset:         110
        .size:           2
        .value_kind:     hidden_group_size_y
      - .offset:         112
        .size:           2
        .value_kind:     hidden_group_size_z
      - .offset:         114
        .size:           2
        .value_kind:     hidden_remainder_x
      - .offset:         116
        .size:           2
        .value_kind:     hidden_remainder_y
      - .offset:         118
        .size:           2
        .value_kind:     hidden_remainder_z
      - .offset:         136
        .size:           8
        .value_kind:     hidden_global_offset_x
      - .offset:         144
        .size:           8
        .value_kind:     hidden_global_offset_y
      - .offset:         152
        .size:           8
        .value_kind:     hidden_global_offset_z
      - .offset:         160
        .size:           2
        .value_kind:     hidden_grid_dims
    .group_segment_fixed_size: 0
    .kernarg_segment_align: 8
    .kernarg_segment_size: 352
    .language:       OpenCL C
    .language_version:
      - 2
      - 0
    .max_flat_workgroup_size: 1024
    .name:           naive_conv_nonpacked_bwd_nchw_float_half_float
    .private_segment_fixed_size: 0
    .sgpr_count:     68
    .sgpr_spill_count: 0
    .symbol:         naive_conv_nonpacked_bwd_nchw_float_half_float.kd
    .uniform_work_group_size: 1
    .uses_dynamic_stack: false
    .vgpr_count:     23
    .vgpr_spill_count: 0
    .wavefront_size: 32
  - .args:
      - .actual_access:  read_only
        .address_space:  global
        .offset:         0
        .size:           8
        .value_kind:     global_buffer
      - .actual_access:  write_only
        .address_space:  global
        .offset:         8
        .size:           8
        .value_kind:     global_buffer
      - .actual_access:  read_only
        .address_space:  global
        .offset:         16
        .size:           8
        .value_kind:     global_buffer
      - .offset:         24
        .size:           4
        .value_kind:     by_value
      - .offset:         28
        .size:           4
        .value_kind:     by_value
      - .offset:         32
        .size:           4
        .value_kind:     by_value
      - .offset:         36
        .size:           4
        .value_kind:     by_value
      - .offset:         40
        .size:           4
        .value_kind:     by_value
      - .offset:         44
        .size:           4
        .value_kind:     by_value
      - .offset:         48
        .size:           4
        .value_kind:     by_value
      - .offset:         52
        .size:           4
        .value_kind:     by_value
      - .offset:         56
        .size:           4
        .value_kind:     by_value
      - .offset:         60
        .size:           4
        .value_kind:     by_value
      - .offset:         64
        .size:           4
        .value_kind:     by_value
      - .offset:         68
        .size:           4
        .value_kind:     by_value
      - .offset:         72
        .size:           4
        .value_kind:     by_value
      - .offset:         76
        .size:           4
        .value_kind:     by_value
      - .offset:         80
        .size:           4
        .value_kind:     by_value
      - .offset:         84
        .size:           4
        .value_kind:     by_value
      - .offset:         88
        .size:           1
        .value_kind:     by_value
      - .offset:         92
        .size:           4
        .value_kind:     by_value
      - .offset:         96
        .size:           4
        .value_kind:     hidden_block_count_x
      - .offset:         100
        .size:           4
        .value_kind:     hidden_block_count_y
      - .offset:         104
        .size:           4
        .value_kind:     hidden_block_count_z
      - .offset:         108
        .size:           2
        .value_kind:     hidden_group_size_x
      - .offset:         110
        .size:           2
        .value_kind:     hidden_group_size_y
      - .offset:         112
        .size:           2
        .value_kind:     hidden_group_size_z
      - .offset:         114
        .size:           2
        .value_kind:     hidden_remainder_x
      - .offset:         116
        .size:           2
        .value_kind:     hidden_remainder_y
      - .offset:         118
        .size:           2
        .value_kind:     hidden_remainder_z
      - .offset:         136
        .size:           8
        .value_kind:     hidden_global_offset_x
      - .offset:         144
        .size:           8
        .value_kind:     hidden_global_offset_y
      - .offset:         152
        .size:           8
        .value_kind:     hidden_global_offset_z
      - .offset:         160
        .size:           2
        .value_kind:     hidden_grid_dims
    .group_segment_fixed_size: 0
    .kernarg_segment_align: 8
    .kernarg_segment_size: 352
    .language:       OpenCL C
    .language_version:
      - 2
      - 0
    .max_flat_workgroup_size: 1024
    .name:           naive_conv_nonpacked_wrw_nchw_float_half_float
    .private_segment_fixed_size: 0
    .sgpr_count:     72
    .sgpr_spill_count: 0
    .symbol:         naive_conv_nonpacked_wrw_nchw_float_half_float.kd
    .uniform_work_group_size: 1
    .uses_dynamic_stack: false
    .vgpr_count:     27
    .vgpr_spill_count: 0
    .wavefront_size: 32
amdhsa.target:   amdgcn-amd-amdhsa--gfx1250
amdhsa.version:
  - 1
  - 2
...

	.end_amdgpu_metadata
